;; amdgpu-corpus repo=ggml-org/llama.cpp kind=compiled arch=gfx90a opt=O3
	.text
	.amdgcn_target "amdgcn-amd-amdhsa--gfx90a"
	.amdhsa_code_object_version 6
	.section	.text._ZL13mm_ids_helperILi2EEvPKiPiS2_S2_iiiii,"axG",@progbits,_ZL13mm_ids_helperILi2EEvPKiPiS2_S2_iiiii,comdat
	.globl	_ZL13mm_ids_helperILi2EEvPKiPiS2_S2_iiiii ; -- Begin function _ZL13mm_ids_helperILi2EEvPKiPiS2_S2_iiiii
	.p2align	8
	.type	_ZL13mm_ids_helperILi2EEvPKiPiS2_S2_iiiii,@function
_ZL13mm_ids_helperILi2EEvPKiPiS2_S2_iiiii: ; @_ZL13mm_ids_helperILi2EEvPKiPiS2_S2_iiiii
; %bb.0:
	s_load_dword s7, s[4:5], 0x20
	s_load_dwordx4 s[72:75], s[4:5], 0x28
	s_mov_b32 s2, 0
	v_mbcnt_lo_u32_b32 v2, -1, 0
	s_waitcnt lgkmcnt(0)
	s_cmp_gt_i32 s7, 0
	s_cbranch_scc1 .LBB0_2
; %bb.1:
	v_mbcnt_hi_u32_b32 v1, -1, v2
	v_and_b32_e32 v7, 64, v1
	v_xor_b32_e32 v6, 1, v1
	s_mov_b64 s[0:1], 0
	s_branch .LBB0_3
.LBB0_2:
	s_mov_b64 s[0:1], -1
                                        ; implicit-def: $sgpr2
                                        ; implicit-def: $vgpr1
                                        ; implicit-def: $vgpr7
                                        ; implicit-def: $vgpr6
.LBB0_3:
	s_load_dwordx4 s[76:79], s[4:5], 0x8
	s_load_dwordx2 s[70:71], s[4:5], 0x18
	s_andn2_b64 vcc, exec, s[0:1]
	v_mov_b32_e32 v4, s2
	v_mov_b32_e32 v5, s2
	s_cbranch_vccnz .LBB0_10
; %bb.4:
	v_mbcnt_hi_u32_b32 v1, -1, v2
	v_and_b32_e32 v2, 0x7e, v1
	v_xor_b32_e32 v6, 1, v1
	v_add_u32_e32 v2, 2, v2
	v_cmp_lt_i32_e32 vcc, v6, v2
	v_cndmask_b32_e32 v2, v1, v6, vcc
	v_lshlrev_b32_e32 v10, 2, v2
	v_bfrev_b32_e32 v2, 0.5
	v_and_b32_e32 v7, 64, v1
	v_lshl_or_b32 v11, v1, 2, v2
	v_add_u32_e32 v2, -2, v1
	v_cmp_lt_i32_e32 vcc, v2, v7
	v_cndmask_b32_e32 v2, v2, v1, vcc
	v_lshlrev_b32_e32 v12, 2, v2
	v_add_u32_e32 v2, -4, v1
	v_cmp_lt_i32_e64 s[0:1], v2, v7
	v_cndmask_b32_e64 v2, v2, v1, s[0:1]
	v_lshlrev_b32_e32 v13, 2, v2
	v_add_u32_e32 v2, -6, v1
	v_cmp_lt_i32_e64 s[2:3], v2, v7
	v_cndmask_b32_e64 v2, v2, v1, s[2:3]
	;; [unrolled: 4-line block ×7, first 2 shown]
	v_lshlrev_b32_e32 v19, 2, v2
	v_subrev_u32_e32 v2, 18, v1
	v_cmp_lt_i32_e64 s[18:19], v2, v7
	v_cndmask_b32_e64 v2, v2, v1, s[18:19]
	v_lshlrev_b32_e32 v20, 2, v2
	v_subrev_u32_e32 v2, 20, v1
	v_cmp_lt_i32_e64 s[20:21], v2, v7
	v_cndmask_b32_e64 v2, v2, v1, s[20:21]
	;; [unrolled: 4-line block ×21, first 2 shown]
	v_lshlrev_b32_e32 v40, 2, v2
	v_subrev_u32_e32 v2, 60, v1
	v_cmp_lt_i32_e64 s[62:63], v2, v7
	s_load_dwordx2 s[80:81], s[4:5], 0x0
	v_cndmask_b32_e64 v2, v2, v1, s[62:63]
	v_lshlrev_b32_e32 v41, 2, v2
	v_subrev_u32_e32 v2, 62, v1
	v_cmp_lt_i32_e64 s[64:65], v2, v7
	v_lshrrev_b32_e32 v8, 1, v0
	v_and_b32_e32 v44, 1, v0
	v_cndmask_b32_e64 v2, v2, v1, s[64:65]
	v_lshlrev_b32_e32 v9, 22, v44
	s_mov_b32 s33, 0
	v_mov_b32_e32 v4, 0
	v_cmp_gt_u32_e32 vcc, 2, v0
	v_cmp_gt_u32_e64 s[0:1], 4, v0
	v_cmp_gt_u32_e64 s[2:3], 6, v0
	;; [unrolled: 1-line block ×29, first 2 shown]
	v_lshlrev_b32_e32 v42, 2, v2
	v_cmp_gt_u32_e64 s[64:65], 62, v0
	v_mad_u64_u32 v[2:3], s[66:67], s73, v8, v[44:45]
	s_lshl_b32 s73, s73, 5
	s_mov_b32 s75, 0x3fffff
	v_mov_b32_e32 v5, 0
	s_branch .LBB0_6
.LBB0_5:                                ;   in Loop: Header=BB0_6 Depth=1
	s_or_b64 exec, exec, s[68:69]
	v_add_u32_e32 v43, v45, v44
	ds_bpermute_b32 v43, v11, v43
	v_cmp_gt_i32_e64 s[66:67], s6, v3
	s_add_i32 s33, s33, 32
	v_addc_co_u32_e64 v4, s[66:67], 0, v4, s[66:67]
	s_waitcnt lgkmcnt(0)
	v_add_u32_e32 v5, v43, v5
	s_cmp_ge_i32 s33, s7
	v_add_u32_e32 v2, s73, v2
	s_cbranch_scc1 .LBB0_10
.LBB0_6:                                ; =>This Inner Loop Header: Depth=1
	v_add_u32_e32 v43, s33, v8
	v_cmp_gt_i32_e64 s[66:67], s7, v43
	v_bfrev_b32_e32 v3, -2
	s_and_saveexec_b64 s[68:69], s[66:67]
	s_cbranch_execz .LBB0_8
; %bb.7:                                ;   in Loop: Header=BB0_6 Depth=1
	v_ashrrev_i32_e32 v3, 31, v2
	v_lshlrev_b64 v[44:45], 2, v[2:3]
	s_waitcnt lgkmcnt(0)
	v_mov_b32_e32 v3, s81
	v_add_co_u32_e64 v44, s[66:67], s80, v44
	v_addc_co_u32_e64 v45, s[66:67], v3, v45, s[66:67]
	global_load_dword v3, v[44:45], off
.LBB0_8:                                ;   in Loop: Header=BB0_6 Depth=1
	s_or_b64 exec, exec, s[68:69]
	s_waitcnt vmcnt(0)
	v_cmp_eq_u32_e64 s[66:67], s6, v3
	v_cndmask_b32_e64 v44, 0, 1, s[66:67]
	ds_bpermute_b32 v45, v10, v44
	s_waitcnt lgkmcnt(0)
	v_or_b32_e32 v44, v45, v44
	v_cmp_ne_u32_e64 s[68:69], 0, v44
	v_cndmask_b32_e64 v44, 0, 1, s[68:69]
	ds_bpermute_b32 v45, v12, v44
	ds_bpermute_b32 v46, v13, v44
	;; [unrolled: 1-line block ×5, first 2 shown]
	s_waitcnt lgkmcnt(4)
	v_cndmask_b32_e64 v45, v45, 0, vcc
	s_waitcnt lgkmcnt(3)
	v_cndmask_b32_e64 v46, v46, 0, s[0:1]
	s_waitcnt lgkmcnt(2)
	v_cndmask_b32_e64 v47, v47, 0, s[2:3]
	v_add3_u32 v45, v46, v45, v47
	ds_bpermute_b32 v46, v17, v44
	ds_bpermute_b32 v47, v18, v44
	s_waitcnt lgkmcnt(3)
	v_cndmask_b32_e64 v48, v48, 0, s[8:9]
	s_waitcnt lgkmcnt(2)
	v_cndmask_b32_e64 v49, v49, 0, s[10:11]
	v_add3_u32 v45, v48, v45, v49
	s_waitcnt lgkmcnt(1)
	v_cndmask_b32_e64 v46, v46, 0, s[12:13]
	s_waitcnt lgkmcnt(0)
	v_cndmask_b32_e64 v47, v47, 0, s[14:15]
	ds_bpermute_b32 v48, v19, v44
	ds_bpermute_b32 v49, v20, v44
	v_add3_u32 v45, v46, v45, v47
	ds_bpermute_b32 v46, v21, v44
	ds_bpermute_b32 v47, v22, v44
	s_waitcnt lgkmcnt(3)
	v_cndmask_b32_e64 v48, v48, 0, s[16:17]
	s_waitcnt lgkmcnt(2)
	v_cndmask_b32_e64 v49, v49, 0, s[18:19]
	v_add3_u32 v45, v48, v45, v49
	s_waitcnt lgkmcnt(1)
	v_cndmask_b32_e64 v46, v46, 0, s[20:21]
	s_waitcnt lgkmcnt(0)
	v_cndmask_b32_e64 v47, v47, 0, s[22:23]
	ds_bpermute_b32 v48, v23, v44
	ds_bpermute_b32 v49, v24, v44
	;; [unrolled: 14-line block ×6, first 2 shown]
	v_add3_u32 v45, v46, v45, v47
	ds_bpermute_b32 v46, v41, v44
	ds_bpermute_b32 v47, v42, v44
	s_waitcnt lgkmcnt(3)
	v_cndmask_b32_e64 v48, v48, 0, s[58:59]
	s_waitcnt lgkmcnt(2)
	v_cndmask_b32_e64 v49, v49, 0, s[60:61]
	v_add3_u32 v45, v48, v45, v49
	s_waitcnt lgkmcnt(1)
	v_cndmask_b32_e64 v46, v46, 0, s[62:63]
	s_waitcnt lgkmcnt(0)
	v_cndmask_b32_e64 v47, v47, 0, s[64:65]
	v_add3_u32 v45, v46, v45, v47
	s_and_saveexec_b64 s[68:69], s[66:67]
	s_cbranch_execz .LBB0_5
; %bb.9:                                ;   in Loop: Header=BB0_6 Depth=1
	v_lshlrev_b32_e32 v46, 2, v5
	v_lshlrev_b32_e32 v47, 2, v45
	v_add3_u32 v46, 0, v46, v47
	v_and_or_b32 v43, v43, s75, v9
	ds_write_b32 v46, v43
	s_branch .LBB0_5
.LBB0_10:
	v_add_u32_e32 v2, 64, v7
	v_xor_b32_e32 v3, 32, v1
	v_cmp_lt_i32_e32 vcc, v3, v2
	v_cndmask_b32_e32 v3, v1, v3, vcc
	v_lshlrev_b32_e32 v3, 2, v3
	ds_bpermute_b32 v7, v3, v4
	v_xor_b32_e32 v3, 16, v1
	v_cmp_lt_i32_e32 vcc, v3, v2
	v_cndmask_b32_e32 v3, v1, v3, vcc
	v_lshlrev_b32_e32 v3, 2, v3
	s_waitcnt lgkmcnt(0)
	v_add_u32_e32 v8, v7, v4
	ds_bpermute_b32 v9, v3, v8
	v_xor_b32_e32 v3, 8, v1
	v_cmp_lt_i32_e32 vcc, v3, v2
	v_cndmask_b32_e32 v3, v1, v3, vcc
	v_lshlrev_b32_e32 v3, 2, v3
	s_waitcnt lgkmcnt(0)
	v_add_u32_e32 v10, v9, v8
	;; [unrolled: 7-line block ×4, first 2 shown]
	ds_bpermute_b32 v11, v3, v12
	v_cmp_lt_i32_e32 vcc, v6, v2
	v_cndmask_b32_e32 v1, v1, v6, vcc
	v_lshlrev_b32_e32 v1, 2, v1
	v_cmp_lt_i32_e32 vcc, v0, v5
	s_waitcnt lgkmcnt(0)
	v_add_u32_e32 v2, v11, v12
	ds_bpermute_b32 v12, v1, v2
	s_waitcnt lgkmcnt(0)
	v_add_u32_e32 v6, v12, v2
	s_and_saveexec_b64 s[12:13], vcc
	s_cbranch_execz .LBB0_24
; %bb.11:
	v_xad_u32 v2, v0, -1, v5
	s_movk_i32 s0, 0x2c0
	v_cmp_gt_u32_e32 vcc, s0, v2
	s_movk_i32 s0, 0x2bf
	v_cmp_lt_u32_e64 s[0:1], s0, v2
	v_mov_b32_e32 v1, v0
	s_and_saveexec_b64 s[14:15], s[0:1]
	s_cbranch_execz .LBB0_21
; %bb.12:
	v_and_b32_e32 v1, 0xffffffc0, v2
	v_add_u32_e32 v3, v6, v0
	v_add_u32_e32 v1, v3, v1
	v_cmp_ge_i32_e64 s[0:1], v1, v3
	s_mov_b64 s[2:3], -1
	v_mov_b32_e32 v1, v0
	s_and_saveexec_b64 s[16:17], s[0:1]
	s_cbranch_execz .LBB0_20
; %bb.13:
	v_lshrrev_b32_e32 v13, 6, v2
	v_add_u32_e32 v1, 64, v0
	v_add_u32_e32 v14, -1, v13
	v_cmp_lt_u32_e64 s[0:1], 1, v14
	v_mov_b32_e32 v15, 0
	v_pk_mov_b32 v[2:3], v[0:1], v[0:1] op_sel:[0,1]
	s_and_saveexec_b64 s[18:19], s[0:1]
	s_cbranch_execz .LBB0_17
; %bb.14:
	s_abs_i32 s7, s72
	v_cvt_f32_u32_e32 v2, s7
	v_lshrrev_b32_e32 v3, 1, v14
	v_add_u32_e32 v3, 1, v3
	s_sub_i32 s0, 0, s7
	v_rcp_iflag_f32_e32 v2, v2
	v_and_b32_e32 v18, -2, v3
	s_mov_b32 s22, 0
	v_lshl_add_u32 v15, v0, 2, 0
	v_mul_f32_e32 v2, 0x4f7ffffe, v2
	v_cvt_u32_f32_e32 v2, v2
	s_mov_b64 s[20:21], 0
	v_mov_b32_e32 v16, s77
	v_mov_b32_e32 v17, s79
	v_mul_lo_u32 v3, s0, v2
	v_mul_hi_u32 v3, v2, v3
	v_add_u32_e32 v19, v2, v3
	v_pk_mov_b32 v[2:3], v[0:1], v[0:1] op_sel:[0,1]
.LBB0_15:                               ; =>This Inner Loop Header: Depth=1
	v_add_u32_e32 v20, v2, v6
	v_add_u32_e32 v18, -2, v18
	v_ashrrev_i32_e32 v21, 31, v20
	v_add_u32_e32 v22, v3, v6
	s_add_i32 s22, s22, 4
	v_add_u32_e32 v28, 0x80, v20
	v_cmp_eq_u32_e64 s[0:1], 0, v18
	v_lshlrev_b64 v[20:21], 2, v[20:21]
	v_ashrrev_i32_e32 v23, 31, v22
	s_or_b64 s[20:21], s[0:1], s[20:21]
	v_add_co_u32_e64 v32, s[0:1], s76, v20
	v_add_u32_e32 v30, 0x80, v22
	v_lshlrev_b64 v[22:23], 2, v[22:23]
	v_addc_co_u32_e64 v33, s[0:1], v16, v21, s[0:1]
	v_add_co_u32_e64 v34, s[0:1], s76, v22
	v_addc_co_u32_e64 v35, s[0:1], v16, v23, s[0:1]
	v_add_co_u32_e64 v20, s[0:1], s78, v20
	v_addc_co_u32_e64 v21, s[0:1], v17, v21, s[0:1]
	v_ashrrev_i32_e32 v29, 31, v28
	v_add_co_u32_e64 v22, s[0:1], s78, v22
	ds_read2st64_b32 v[24:25], v15 offset1:1
	ds_read2st64_b32 v[26:27], v15 offset0:2 offset1:3
	v_addc_co_u32_e64 v23, s[0:1], v17, v23, s[0:1]
	v_lshlrev_b64 v[28:29], 2, v[28:29]
	v_ashrrev_i32_e32 v31, 31, v30
	v_add_co_u32_e64 v36, s[0:1], s76, v28
	v_lshlrev_b64 v[30:31], 2, v[30:31]
	v_addc_co_u32_e64 v37, s[0:1], v16, v29, s[0:1]
	v_add_co_u32_e64 v38, s[0:1], s76, v30
	v_addc_co_u32_e64 v39, s[0:1], v16, v31, s[0:1]
	s_waitcnt lgkmcnt(1)
	v_and_b32_e32 v40, 0x3fffff, v24
	v_lshrrev_b32_e32 v24, 22, v24
	v_add_co_u32_e64 v28, s[0:1], s78, v28
	v_and_b32_e32 v41, 0x3fffff, v25
	v_lshrrev_b32_e32 v25, 22, v25
	s_waitcnt lgkmcnt(0)
	v_and_b32_e32 v42, 0x3fffff, v26
	v_and_b32_e32 v43, 0x3fffff, v27
	v_lshrrev_b32_e32 v27, 22, v27
	v_lshrrev_b32_e32 v26, 22, v26
	v_mul_hi_u32 v44, v24, v19
	v_addc_co_u32_e64 v29, s[0:1], v17, v29, s[0:1]
	v_mul_hi_u32 v45, v25, v19
	v_lshl_add_u32 v47, v40, 1, v24
	v_mul_hi_u32 v48, v26, v19
	v_mul_hi_u32 v49, v27, v19
	v_mul_lo_u32 v44, v44, s7
	v_add_co_u32_e64 v30, s[0:1], s78, v30
	v_lshl_add_u32 v46, v41, 1, v25
	v_mul_lo_u32 v45, v45, s7
	global_store_dword v[20:21], v47, off
	global_store_dword v[22:23], v46, off
	v_mul_lo_u32 v20, v48, s7
	v_mul_lo_u32 v21, v49, s7
	v_sub_u32_e32 v22, v24, v44
	v_addc_co_u32_e64 v31, s[0:1], v17, v31, s[0:1]
	v_sub_u32_e32 v23, v25, v45
	v_sub_u32_e32 v20, v26, v20
	;; [unrolled: 1-line block ×3, first 2 shown]
	v_subrev_u32_e32 v24, s7, v22
	v_cmp_le_u32_e64 s[10:11], s7, v22
	v_lshl_add_u32 v50, v43, 1, v27
	v_lshl_add_u32 v51, v42, 1, v26
	v_subrev_u32_e32 v25, s7, v23
	v_cmp_le_u32_e64 s[0:1], s7, v23
	v_subrev_u32_e32 v26, s7, v20
	v_cmp_le_u32_e64 s[2:3], s7, v20
	;; [unrolled: 2-line block ×3, first 2 shown]
	v_cndmask_b32_e64 v22, v22, v24, s[10:11]
	v_cndmask_b32_e64 v23, v23, v25, s[0:1]
	;; [unrolled: 1-line block ×4, first 2 shown]
	v_subrev_u32_e32 v20, s7, v22
	v_cmp_le_u32_e64 s[10:11], s7, v22
	v_subrev_u32_e32 v25, s7, v23
	v_cmp_le_u32_e64 s[0:1], s7, v23
	;; [unrolled: 2-line block ×4, first 2 shown]
	v_cndmask_b32_e64 v20, v22, v20, s[10:11]
	v_add_u32_e32 v3, 0x100, v3
	v_add_u32_e32 v2, 0x100, v2
	;; [unrolled: 1-line block ×3, first 2 shown]
	v_mov_b32_e32 v1, s22
	v_cndmask_b32_e64 v22, v23, v25, s[0:1]
	v_cndmask_b32_e64 v24, v24, v26, s[2:3]
	;; [unrolled: 1-line block ×3, first 2 shown]
	v_mad_u64_u32 v[20:21], s[0:1], v40, s74, v[20:21]
	global_store_dword v[28:29], v51, off
	global_store_dword v[30:31], v50, off
	v_mad_u64_u32 v[22:23], s[0:1], v41, s74, v[22:23]
	v_mad_u64_u32 v[26:27], s[0:1], v43, s74, v[26:27]
	;; [unrolled: 1-line block ×3, first 2 shown]
	global_store_dword v[32:33], v20, off
	global_store_dword v[34:35], v22, off
	;; [unrolled: 1-line block ×4, first 2 shown]
	s_andn2_b64 exec, exec, s[20:21]
	s_cbranch_execnz .LBB0_15
; %bb.16:
	s_or_b64 exec, exec, s[20:21]
	v_lshlrev_b32_e32 v15, 6, v1
.LBB0_17:
	s_or_b64 exec, exec, s[18:19]
	v_and_b32_e32 v1, 2, v14
	v_cmp_eq_u32_e64 s[0:1], 0, v1
	s_and_saveexec_b64 s[2:3], s[0:1]
	s_cbranch_execz .LBB0_19
; %bb.18:
	s_abs_i32 s7, s72
	v_cvt_f32_u32_e32 v16, s7
	v_add_u32_e32 v1, v0, v15
	v_lshl_add_u32 v1, v1, 2, 0
	ds_read2st64_b32 v[14:15], v1 offset1:1
	v_rcp_iflag_f32_e32 v1, v16
	s_sub_i32 s0, 0, s7
	v_add_u32_e32 v2, v2, v6
	v_add_u32_e32 v18, v3, v6
	v_mul_f32_e32 v1, 0x4f7ffffe, v1
	v_cvt_u32_f32_e32 v1, v1
	s_waitcnt lgkmcnt(0)
	v_and_b32_e32 v24, 0x3fffff, v14
	v_lshrrev_b32_e32 v27, 22, v14
	v_lshrrev_b32_e32 v26, 22, v15
	v_mul_lo_u32 v14, s0, v1
	v_mul_hi_u32 v14, v1, v14
	v_add_u32_e32 v1, v1, v14
	v_mul_hi_u32 v14, v27, v1
	v_mul_lo_u32 v14, v14, s7
	v_sub_u32_e32 v14, v27, v14
	v_and_b32_e32 v25, 0x3fffff, v15
	v_subrev_u32_e32 v15, s7, v14
	v_cmp_le_u32_e64 s[0:1], s7, v14
	v_mul_hi_u32 v1, v26, v1
	v_cndmask_b32_e64 v14, v14, v15, s[0:1]
	v_mul_lo_u32 v1, v1, s7
	v_subrev_u32_e32 v15, s7, v14
	v_cmp_le_u32_e64 s[0:1], s7, v14
	v_sub_u32_e32 v1, v26, v1
	v_cndmask_b32_e64 v14, v14, v15, s[0:1]
	v_subrev_u32_e32 v15, s7, v1
	v_cmp_le_u32_e64 s[0:1], s7, v1
	v_cndmask_b32_e64 v1, v1, v15, s[0:1]
	v_subrev_u32_e32 v15, s7, v1
	v_cmp_le_u32_e64 s[0:1], s7, v1
	v_cndmask_b32_e64 v16, v1, v15, s[0:1]
	v_ashrrev_i32_e32 v3, 31, v2
	v_mad_u64_u32 v[16:17], s[0:1], v25, s74, v[16:17]
	v_mad_u64_u32 v[14:15], s[0:1], v24, s74, v[14:15]
	v_lshlrev_b64 v[2:3], 2, v[2:3]
	v_ashrrev_i32_e32 v19, 31, v18
	v_mov_b32_e32 v1, s77
	v_add_co_u32_e64 v20, s[0:1], s76, v2
	v_addc_co_u32_e64 v21, s[0:1], v1, v3, s[0:1]
	v_lshlrev_b64 v[18:19], 2, v[18:19]
	v_add_co_u32_e64 v22, s[0:1], s76, v18
	v_addc_co_u32_e64 v23, s[0:1], v1, v19, s[0:1]
	v_mov_b32_e32 v15, s79
	v_add_co_u32_e64 v2, s[0:1], s78, v2
	v_addc_co_u32_e64 v3, s[0:1], v15, v3, s[0:1]
	global_store_dword v[20:21], v14, off
	global_store_dword v[22:23], v16, off
	v_lshl_add_u32 v16, v24, 1, v27
	v_add_co_u32_e64 v14, s[0:1], s78, v18
	v_lshl_add_u32 v1, v25, 1, v26
	v_addc_co_u32_e64 v15, s[0:1], v15, v19, s[0:1]
	global_store_dword v[2:3], v16, off
	global_store_dword v[14:15], v1, off
.LBB0_19:
	s_or_b64 exec, exec, s[2:3]
	v_add_u32_e32 v2, 1, v13
	v_and_b32_e32 v3, 0x7fffffe, v2
	v_cmp_ne_u32_e64 s[0:1], v2, v3
	v_lshl_add_u32 v1, v3, 6, v0
	s_orn2_b64 s[2:3], s[0:1], exec
.LBB0_20:
	s_or_b64 exec, exec, s[16:17]
	s_andn2_b64 s[0:1], vcc, exec
	s_and_b64 s[2:3], s[2:3], exec
	s_or_b64 vcc, s[0:1], s[2:3]
.LBB0_21:
	s_or_b64 exec, exec, s[14:15]
	s_and_b64 exec, exec, vcc
	s_cbranch_execz .LBB0_24
; %bb.22:
	s_abs_i32 s7, s72
	v_cvt_f32_u32_e32 v2, s7
	v_add_u32_e32 v3, v7, v9
	s_sub_i32 s0, 0, s7
	v_lshl_add_u32 v7, v1, 2, 0
	v_rcp_iflag_f32_e32 v2, v2
	s_mov_b64 s[2:3], 0
	v_mov_b32_e32 v9, s77
	v_mul_f32_e32 v2, 0x4f7ffffe, v2
	v_cvt_u32_f32_e32 v13, v2
	v_add3_u32 v2, v3, v8, v10
	v_add3_u32 v2, v2, v11, v12
	;; [unrolled: 1-line block ×3, first 2 shown]
	v_mul_lo_u32 v3, s0, v13
	v_mul_hi_u32 v3, v13, v3
	v_add_u32_e32 v4, v13, v3
	v_mov_b32_e32 v8, s79
.LBB0_23:                               ; =>This Inner Loop Header: Depth=1
	ds_read_b32 v14, v7
	v_ashrrev_i32_e32 v3, 31, v2
	v_lshlrev_b64 v[10:11], 2, v[2:3]
	v_add_co_u32_e64 v12, s[0:1], s76, v10
	v_addc_co_u32_e64 v13, s[0:1], v9, v11, s[0:1]
	s_waitcnt lgkmcnt(0)
	v_and_b32_e32 v3, 0x3fffff, v14
	v_lshrrev_b32_e32 v14, 22, v14
	v_add_co_u32_e64 v10, s[0:1], s78, v10
	v_mul_hi_u32 v15, v14, v4
	v_add_u32_e32 v1, 64, v1
	v_addc_co_u32_e64 v11, s[0:1], v8, v11, s[0:1]
	v_lshl_add_u32 v16, v3, 1, v14
	v_mul_lo_u32 v15, v15, s7
	v_cmp_ge_i32_e32 vcc, v1, v5
	global_store_dword v[10:11], v16, off
	v_sub_u32_e32 v10, v14, v15
	s_or_b64 s[2:3], vcc, s[2:3]
	v_subrev_u32_e32 v11, s7, v10
	v_cmp_le_u32_e32 vcc, s7, v10
	v_cndmask_b32_e32 v10, v10, v11, vcc
	v_subrev_u32_e32 v11, s7, v10
	v_cmp_le_u32_e32 vcc, s7, v10
	v_cndmask_b32_e32 v10, v10, v11, vcc
	v_add_u32_e32 v7, 0x100, v7
	v_add_u32_e32 v2, 64, v2
	v_mad_u64_u32 v[10:11], s[0:1], v3, s74, v[10:11]
	global_store_dword v[12:13], v10, off
	s_andn2_b64 exec, exec, s[2:3]
	s_cbranch_execnz .LBB0_23
.LBB0_24:
	s_or_b64 exec, exec, s[12:13]
	v_cmp_eq_u32_e32 vcc, 0, v0
	s_and_saveexec_b64 s[0:1], vcc
	s_cbranch_execz .LBB0_27
; %bb.25:
	s_load_dword s0, s[4:5], 0x38
	s_ashr_i32 s7, s6, 31
	s_lshl_b64 s[2:3], s[6:7], 2
	s_add_u32 s2, s70, s2
	s_addc_u32 s3, s71, s3
	s_waitcnt lgkmcnt(0)
	s_add_i32 s1, s0, -1
	v_mov_b32_e32 v0, 0
	s_cmp_lt_i32 s6, s1
	global_store_dword v0, v6, s[2:3]
	s_cbranch_scc1 .LBB0_27
; %bb.26:
	s_mov_b32 s1, 0
	s_lshl_b64 s[0:1], s[0:1], 2
	s_add_u32 s0, s70, s0
	s_addc_u32 s1, s71, s1
	v_add_u32_e32 v1, v6, v5
	global_store_dword v0, v1, s[0:1]
.LBB0_27:
	s_endpgm
	.section	.rodata,"a",@progbits
	.p2align	6, 0x0
	.amdhsa_kernel _ZL13mm_ids_helperILi2EEvPKiPiS2_S2_iiiii
		.amdhsa_group_segment_fixed_size 0
		.amdhsa_private_segment_fixed_size 0
		.amdhsa_kernarg_size 312
		.amdhsa_user_sgpr_count 6
		.amdhsa_user_sgpr_private_segment_buffer 1
		.amdhsa_user_sgpr_dispatch_ptr 0
		.amdhsa_user_sgpr_queue_ptr 0
		.amdhsa_user_sgpr_kernarg_segment_ptr 1
		.amdhsa_user_sgpr_dispatch_id 0
		.amdhsa_user_sgpr_flat_scratch_init 0
		.amdhsa_user_sgpr_kernarg_preload_length 0
		.amdhsa_user_sgpr_kernarg_preload_offset 0
		.amdhsa_user_sgpr_private_segment_size 0
		.amdhsa_uses_dynamic_stack 0
		.amdhsa_system_sgpr_private_segment_wavefront_offset 0
		.amdhsa_system_sgpr_workgroup_id_x 1
		.amdhsa_system_sgpr_workgroup_id_y 0
		.amdhsa_system_sgpr_workgroup_id_z 0
		.amdhsa_system_sgpr_workgroup_info 0
		.amdhsa_system_vgpr_workitem_id 0
		.amdhsa_next_free_vgpr 52
		.amdhsa_next_free_sgpr 82
		.amdhsa_accum_offset 52
		.amdhsa_reserve_vcc 1
		.amdhsa_reserve_flat_scratch 0
		.amdhsa_float_round_mode_32 0
		.amdhsa_float_round_mode_16_64 0
		.amdhsa_float_denorm_mode_32 3
		.amdhsa_float_denorm_mode_16_64 3
		.amdhsa_dx10_clamp 1
		.amdhsa_ieee_mode 1
		.amdhsa_fp16_overflow 0
		.amdhsa_tg_split 0
		.amdhsa_exception_fp_ieee_invalid_op 0
		.amdhsa_exception_fp_denorm_src 0
		.amdhsa_exception_fp_ieee_div_zero 0
		.amdhsa_exception_fp_ieee_overflow 0
		.amdhsa_exception_fp_ieee_underflow 0
		.amdhsa_exception_fp_ieee_inexact 0
		.amdhsa_exception_int_div_zero 0
	.end_amdhsa_kernel
	.section	.text._ZL13mm_ids_helperILi2EEvPKiPiS2_S2_iiiii,"axG",@progbits,_ZL13mm_ids_helperILi2EEvPKiPiS2_S2_iiiii,comdat
.Lfunc_end0:
	.size	_ZL13mm_ids_helperILi2EEvPKiPiS2_S2_iiiii, .Lfunc_end0-_ZL13mm_ids_helperILi2EEvPKiPiS2_S2_iiiii
                                        ; -- End function
	.section	.AMDGPU.csdata,"",@progbits
; Kernel info:
; codeLenInByte = 4116
; NumSgprs: 86
; NumVgprs: 52
; NumAgprs: 0
; TotalNumVgprs: 52
; ScratchSize: 0
; MemoryBound: 0
; FloatMode: 240
; IeeeMode: 1
; LDSByteSize: 0 bytes/workgroup (compile time only)
; SGPRBlocks: 10
; VGPRBlocks: 6
; NumSGPRsForWavesPerEU: 86
; NumVGPRsForWavesPerEU: 52
; AccumOffset: 52
; Occupancy: 8
; WaveLimiterHint : 0
; COMPUTE_PGM_RSRC2:SCRATCH_EN: 0
; COMPUTE_PGM_RSRC2:USER_SGPR: 6
; COMPUTE_PGM_RSRC2:TRAP_HANDLER: 0
; COMPUTE_PGM_RSRC2:TGID_X_EN: 1
; COMPUTE_PGM_RSRC2:TGID_Y_EN: 0
; COMPUTE_PGM_RSRC2:TGID_Z_EN: 0
; COMPUTE_PGM_RSRC2:TIDIG_COMP_CNT: 0
; COMPUTE_PGM_RSRC3_GFX90A:ACCUM_OFFSET: 12
; COMPUTE_PGM_RSRC3_GFX90A:TG_SPLIT: 0
	.section	.text._ZL13mm_ids_helperILi4EEvPKiPiS2_S2_iiiii,"axG",@progbits,_ZL13mm_ids_helperILi4EEvPKiPiS2_S2_iiiii,comdat
	.globl	_ZL13mm_ids_helperILi4EEvPKiPiS2_S2_iiiii ; -- Begin function _ZL13mm_ids_helperILi4EEvPKiPiS2_S2_iiiii
	.p2align	8
	.type	_ZL13mm_ids_helperILi4EEvPKiPiS2_S2_iiiii,@function
_ZL13mm_ids_helperILi4EEvPKiPiS2_S2_iiiii: ; @_ZL13mm_ids_helperILi4EEvPKiPiS2_S2_iiiii
; %bb.0:
	s_load_dword s7, s[4:5], 0x20
	s_load_dwordx4 s[40:43], s[4:5], 0x28
	s_mov_b32 s2, 0
	v_mbcnt_lo_u32_b32 v2, -1, 0
	s_waitcnt lgkmcnt(0)
	s_cmp_gt_i32 s7, 0
	s_cbranch_scc1 .LBB1_2
; %bb.1:
	v_mbcnt_hi_u32_b32 v1, -1, v2
	v_and_b32_e32 v7, 64, v1
	v_xor_b32_e32 v6, 2, v1
	v_xor_b32_e32 v12, 1, v1
	s_mov_b64 s[0:1], 0
	s_branch .LBB1_3
.LBB1_2:
	s_mov_b64 s[0:1], -1
                                        ; implicit-def: $sgpr2
                                        ; implicit-def: $vgpr1
                                        ; implicit-def: $vgpr7
                                        ; implicit-def: $vgpr6
                                        ; implicit-def: $vgpr12
.LBB1_3:
	s_load_dwordx4 s[44:47], s[4:5], 0x8
	s_load_dwordx2 s[38:39], s[4:5], 0x18
	s_andn2_b64 vcc, exec, s[0:1]
	v_mov_b32_e32 v5, s2
	v_mov_b32_e32 v4, s2
	s_cbranch_vccnz .LBB1_10
; %bb.4:
	v_mbcnt_hi_u32_b32 v1, -1, v2
	v_and_b32_e32 v2, 0x7c, v1
	v_add_u32_e32 v2, 4, v2
	v_xor_b32_e32 v6, 2, v1
	v_cmp_lt_i32_e32 vcc, v6, v2
	v_xor_b32_e32 v12, 1, v1
	v_cndmask_b32_e32 v3, v1, v6, vcc
	v_cmp_lt_i32_e32 vcc, v12, v2
	v_cndmask_b32_e32 v2, v1, v12, vcc
	v_lshlrev_b32_e32 v11, 2, v2
	v_bfrev_b32_e32 v2, 0.5
	v_and_b32_e32 v7, 64, v1
	v_lshl_or_b32 v13, v1, 2, v2
	v_add_u32_e32 v2, -4, v1
	v_cmp_lt_i32_e32 vcc, v2, v7
	v_cndmask_b32_e32 v2, v2, v1, vcc
	v_lshlrev_b32_e32 v14, 2, v2
	v_add_u32_e32 v2, -8, v1
	v_cmp_lt_i32_e64 s[0:1], v2, v7
	v_cndmask_b32_e64 v2, v2, v1, s[0:1]
	v_lshlrev_b32_e32 v15, 2, v2
	v_add_u32_e32 v2, -12, v1
	v_cmp_lt_i32_e64 s[2:3], v2, v7
	v_cndmask_b32_e64 v2, v2, v1, s[2:3]
	;; [unrolled: 4-line block ×3, first 2 shown]
	v_lshlrev_b32_e32 v17, 2, v2
	v_subrev_u32_e32 v2, 20, v1
	v_cmp_lt_i32_e64 s[10:11], v2, v7
	v_cndmask_b32_e64 v2, v2, v1, s[10:11]
	v_lshlrev_b32_e32 v18, 2, v2
	v_subrev_u32_e32 v2, 24, v1
	v_cmp_lt_i32_e64 s[12:13], v2, v7
	v_cndmask_b32_e64 v2, v2, v1, s[12:13]
	;; [unrolled: 4-line block ×9, first 2 shown]
	v_lshlrev_b32_e32 v26, 2, v2
	v_subrev_u32_e32 v2, 56, v1
	v_cmp_lt_i32_e64 s[28:29], v2, v7
	s_load_dwordx2 s[48:49], s[4:5], 0x0
	v_cndmask_b32_e64 v2, v2, v1, s[28:29]
	v_lshlrev_b32_e32 v27, 2, v2
	v_subrev_u32_e32 v2, 60, v1
	v_cmp_lt_i32_e64 s[30:31], v2, v7
	v_lshrrev_b32_e32 v8, 2, v0
	v_and_b32_e32 v4, 3, v0
	v_mov_b32_e32 v5, 0
	v_cndmask_b32_e64 v2, v2, v1, s[30:31]
	v_lshlrev_b32_e32 v9, 22, v4
	s_mov_b32 s33, 0
	v_lshlrev_b32_e32 v10, 2, v3
	v_cmp_gt_u32_e32 vcc, 4, v0
	v_cmp_gt_u32_e64 s[0:1], 8, v0
	v_cmp_gt_u32_e64 s[2:3], 12, v0
	;; [unrolled: 1-line block ×13, first 2 shown]
	v_lshlrev_b32_e32 v28, 2, v2
	v_cmp_gt_u32_e64 s[30:31], 60, v0
	v_mad_u64_u32 v[2:3], s[34:35], s41, v8, v[4:5]
	s_lshl_b32 s41, s41, 4
	s_mov_b32 s43, 0x3fffff
	v_mov_b32_e32 v4, 0
	s_branch .LBB1_6
.LBB1_5:                                ;   in Loop: Header=BB1_6 Depth=1
	s_or_b64 exec, exec, s[36:37]
	v_add_u32_e32 v29, v31, v30
	ds_bpermute_b32 v29, v13, v29
	v_cmp_gt_i32_e64 s[34:35], s6, v3
	s_add_i32 s33, s33, 16
	v_addc_co_u32_e64 v5, s[34:35], 0, v5, s[34:35]
	s_waitcnt lgkmcnt(0)
	v_add_u32_e32 v4, v29, v4
	s_cmp_ge_i32 s33, s7
	v_add_u32_e32 v2, s41, v2
	s_cbranch_scc1 .LBB1_10
.LBB1_6:                                ; =>This Inner Loop Header: Depth=1
	v_add_u32_e32 v29, s33, v8
	v_cmp_gt_i32_e64 s[34:35], s7, v29
	v_bfrev_b32_e32 v3, -2
	s_and_saveexec_b64 s[36:37], s[34:35]
	s_cbranch_execz .LBB1_8
; %bb.7:                                ;   in Loop: Header=BB1_6 Depth=1
	v_ashrrev_i32_e32 v3, 31, v2
	v_lshlrev_b64 v[30:31], 2, v[2:3]
	s_waitcnt lgkmcnt(0)
	v_mov_b32_e32 v3, s49
	v_add_co_u32_e64 v30, s[34:35], s48, v30
	v_addc_co_u32_e64 v31, s[34:35], v3, v31, s[34:35]
	global_load_dword v3, v[30:31], off
.LBB1_8:                                ;   in Loop: Header=BB1_6 Depth=1
	s_or_b64 exec, exec, s[36:37]
	s_waitcnt vmcnt(0)
	v_cmp_eq_u32_e64 s[34:35], s6, v3
	v_cndmask_b32_e64 v30, 0, 1, s[34:35]
	ds_bpermute_b32 v31, v10, v30
	s_waitcnt lgkmcnt(0)
	v_or_b32_e32 v30, v31, v30
	v_cmp_ne_u32_e64 s[36:37], 0, v30
	v_cndmask_b32_e64 v31, 0, 1, s[36:37]
	ds_bpermute_b32 v31, v11, v31
	s_waitcnt lgkmcnt(0)
	v_or_b32_e32 v30, v31, v30
	v_cmp_ne_u32_e64 s[36:37], 0, v30
	v_cndmask_b32_e64 v30, 0, 1, s[36:37]
	ds_bpermute_b32 v31, v14, v30
	ds_bpermute_b32 v32, v15, v30
	;; [unrolled: 1-line block ×7, first 2 shown]
	s_waitcnt lgkmcnt(6)
	v_cndmask_b32_e64 v31, v31, 0, vcc
	s_waitcnt lgkmcnt(5)
	v_cndmask_b32_e64 v32, v32, 0, s[0:1]
	s_waitcnt lgkmcnt(4)
	v_cndmask_b32_e64 v33, v33, 0, s[2:3]
	;; [unrolled: 2-line block ×3, first 2 shown]
	v_add3_u32 v31, v32, v31, v33
	s_waitcnt lgkmcnt(2)
	v_cndmask_b32_e64 v32, v35, 0, s[10:11]
	v_add3_u32 v31, v34, v31, v32
	s_waitcnt lgkmcnt(1)
	v_cndmask_b32_e64 v32, v36, 0, s[12:13]
	s_waitcnt lgkmcnt(0)
	v_cndmask_b32_e64 v33, v37, 0, s[14:15]
	ds_bpermute_b32 v34, v21, v30
	ds_bpermute_b32 v35, v22, v30
	v_add3_u32 v31, v32, v31, v33
	ds_bpermute_b32 v32, v23, v30
	ds_bpermute_b32 v33, v24, v30
	s_waitcnt lgkmcnt(3)
	v_cndmask_b32_e64 v34, v34, 0, s[16:17]
	s_waitcnt lgkmcnt(2)
	v_cndmask_b32_e64 v35, v35, 0, s[18:19]
	v_add3_u32 v31, v34, v31, v35
	s_waitcnt lgkmcnt(1)
	v_cndmask_b32_e64 v32, v32, 0, s[20:21]
	s_waitcnt lgkmcnt(0)
	v_cndmask_b32_e64 v33, v33, 0, s[22:23]
	ds_bpermute_b32 v34, v25, v30
	ds_bpermute_b32 v35, v26, v30
	v_add3_u32 v31, v32, v31, v33
	ds_bpermute_b32 v32, v27, v30
	ds_bpermute_b32 v33, v28, v30
	s_waitcnt lgkmcnt(3)
	v_cndmask_b32_e64 v34, v34, 0, s[24:25]
	s_waitcnt lgkmcnt(2)
	v_cndmask_b32_e64 v35, v35, 0, s[26:27]
	v_add3_u32 v31, v34, v31, v35
	s_waitcnt lgkmcnt(1)
	v_cndmask_b32_e64 v32, v32, 0, s[28:29]
	s_waitcnt lgkmcnt(0)
	v_cndmask_b32_e64 v33, v33, 0, s[30:31]
	v_add3_u32 v31, v32, v31, v33
	s_and_saveexec_b64 s[36:37], s[34:35]
	s_cbranch_execz .LBB1_5
; %bb.9:                                ;   in Loop: Header=BB1_6 Depth=1
	v_lshlrev_b32_e32 v32, 2, v4
	v_lshlrev_b32_e32 v33, 2, v31
	v_add3_u32 v32, 0, v32, v33
	v_and_or_b32 v29, v29, s43, v9
	ds_write_b32 v32, v29
	s_branch .LBB1_5
.LBB1_10:
	v_add_u32_e32 v2, 64, v7
	v_xor_b32_e32 v3, 32, v1
	v_cmp_lt_i32_e32 vcc, v3, v2
	v_cndmask_b32_e32 v3, v1, v3, vcc
	v_lshlrev_b32_e32 v3, 2, v3
	ds_bpermute_b32 v7, v3, v5
	v_xor_b32_e32 v3, 16, v1
	v_cmp_lt_i32_e32 vcc, v3, v2
	v_cndmask_b32_e32 v3, v1, v3, vcc
	v_lshlrev_b32_e32 v3, 2, v3
	s_waitcnt lgkmcnt(0)
	v_add_u32_e32 v8, v7, v5
	ds_bpermute_b32 v9, v3, v8
	v_xor_b32_e32 v3, 8, v1
	v_cmp_lt_i32_e32 vcc, v3, v2
	v_cndmask_b32_e32 v3, v1, v3, vcc
	v_lshlrev_b32_e32 v3, 2, v3
	s_waitcnt lgkmcnt(0)
	v_add_u32_e32 v10, v9, v8
	;; [unrolled: 7-line block ×3, first 2 shown]
	ds_bpermute_b32 v10, v3, v11
	v_cmp_lt_i32_e32 vcc, v6, v2
	v_cndmask_b32_e32 v3, v1, v6, vcc
	v_lshlrev_b32_e32 v3, 2, v3
	v_cmp_lt_i32_e32 vcc, v12, v2
	s_waitcnt lgkmcnt(0)
	v_add_u32_e32 v6, v10, v11
	ds_bpermute_b32 v11, v3, v6
	v_cndmask_b32_e32 v1, v1, v12, vcc
	v_lshlrev_b32_e32 v1, 2, v1
	v_cmp_lt_i32_e32 vcc, v0, v4
	s_waitcnt lgkmcnt(0)
	v_add_u32_e32 v2, v11, v6
	ds_bpermute_b32 v12, v1, v2
	s_waitcnt lgkmcnt(0)
	v_add_u32_e32 v6, v12, v2
	s_and_saveexec_b64 s[12:13], vcc
	s_cbranch_execz .LBB1_24
; %bb.11:
	v_xad_u32 v2, v0, -1, v4
	s_movk_i32 s0, 0x2c0
	v_cmp_gt_u32_e32 vcc, s0, v2
	s_movk_i32 s0, 0x2bf
	v_cmp_lt_u32_e64 s[0:1], s0, v2
	v_mov_b32_e32 v1, v0
	s_and_saveexec_b64 s[14:15], s[0:1]
	s_cbranch_execz .LBB1_21
; %bb.12:
	v_and_b32_e32 v1, 0xffffffc0, v2
	v_add_u32_e32 v3, v6, v0
	v_add_u32_e32 v1, v3, v1
	v_cmp_ge_i32_e64 s[0:1], v1, v3
	s_mov_b64 s[2:3], -1
	v_mov_b32_e32 v1, v0
	s_and_saveexec_b64 s[16:17], s[0:1]
	s_cbranch_execz .LBB1_20
; %bb.13:
	v_lshrrev_b32_e32 v13, 6, v2
	v_add_u32_e32 v1, 64, v0
	v_add_u32_e32 v14, -1, v13
	v_cmp_lt_u32_e64 s[0:1], 1, v14
	v_mov_b32_e32 v15, 0
	v_pk_mov_b32 v[2:3], v[0:1], v[0:1] op_sel:[0,1]
	s_and_saveexec_b64 s[18:19], s[0:1]
	s_cbranch_execz .LBB1_17
; %bb.14:
	s_abs_i32 s7, s40
	v_cvt_f32_u32_e32 v2, s7
	v_lshrrev_b32_e32 v3, 1, v14
	v_add_u32_e32 v3, 1, v3
	s_sub_i32 s0, 0, s7
	v_rcp_iflag_f32_e32 v2, v2
	v_and_b32_e32 v18, -2, v3
	s_mov_b32 s22, 0
	v_lshl_add_u32 v15, v0, 2, 0
	v_mul_f32_e32 v2, 0x4f7ffffe, v2
	v_cvt_u32_f32_e32 v2, v2
	s_mov_b64 s[20:21], 0
	v_mov_b32_e32 v16, s45
	v_mov_b32_e32 v17, s47
	v_mul_lo_u32 v3, s0, v2
	v_mul_hi_u32 v3, v2, v3
	v_add_u32_e32 v19, v2, v3
	v_pk_mov_b32 v[2:3], v[0:1], v[0:1] op_sel:[0,1]
.LBB1_15:                               ; =>This Inner Loop Header: Depth=1
	v_add_u32_e32 v20, v2, v6
	v_add_u32_e32 v18, -2, v18
	v_ashrrev_i32_e32 v21, 31, v20
	v_add_u32_e32 v22, v3, v6
	s_add_i32 s22, s22, 4
	v_add_u32_e32 v28, 0x80, v20
	v_cmp_eq_u32_e64 s[0:1], 0, v18
	v_lshlrev_b64 v[20:21], 2, v[20:21]
	v_ashrrev_i32_e32 v23, 31, v22
	s_or_b64 s[20:21], s[0:1], s[20:21]
	v_add_co_u32_e64 v32, s[0:1], s44, v20
	v_add_u32_e32 v30, 0x80, v22
	v_lshlrev_b64 v[22:23], 2, v[22:23]
	v_addc_co_u32_e64 v33, s[0:1], v16, v21, s[0:1]
	v_add_co_u32_e64 v34, s[0:1], s44, v22
	v_addc_co_u32_e64 v35, s[0:1], v16, v23, s[0:1]
	v_add_co_u32_e64 v20, s[0:1], s46, v20
	v_addc_co_u32_e64 v21, s[0:1], v17, v21, s[0:1]
	v_ashrrev_i32_e32 v29, 31, v28
	v_add_co_u32_e64 v22, s[0:1], s46, v22
	ds_read2st64_b32 v[24:25], v15 offset1:1
	ds_read2st64_b32 v[26:27], v15 offset0:2 offset1:3
	v_addc_co_u32_e64 v23, s[0:1], v17, v23, s[0:1]
	v_lshlrev_b64 v[28:29], 2, v[28:29]
	v_ashrrev_i32_e32 v31, 31, v30
	v_add_co_u32_e64 v36, s[0:1], s44, v28
	v_lshlrev_b64 v[30:31], 2, v[30:31]
	v_addc_co_u32_e64 v37, s[0:1], v16, v29, s[0:1]
	v_add_co_u32_e64 v38, s[0:1], s44, v30
	v_addc_co_u32_e64 v39, s[0:1], v16, v31, s[0:1]
	s_waitcnt lgkmcnt(1)
	v_and_b32_e32 v40, 0x3fffff, v24
	v_lshrrev_b32_e32 v24, 22, v24
	v_add_co_u32_e64 v28, s[0:1], s46, v28
	v_and_b32_e32 v41, 0x3fffff, v25
	v_lshrrev_b32_e32 v25, 22, v25
	s_waitcnt lgkmcnt(0)
	v_and_b32_e32 v42, 0x3fffff, v26
	v_and_b32_e32 v43, 0x3fffff, v27
	v_lshrrev_b32_e32 v27, 22, v27
	v_lshrrev_b32_e32 v26, 22, v26
	v_mul_hi_u32 v44, v24, v19
	v_addc_co_u32_e64 v29, s[0:1], v17, v29, s[0:1]
	v_mul_hi_u32 v45, v25, v19
	v_lshl_add_u32 v47, v40, 2, v24
	v_mul_hi_u32 v48, v26, v19
	v_mul_hi_u32 v49, v27, v19
	v_mul_lo_u32 v44, v44, s7
	v_add_co_u32_e64 v30, s[0:1], s46, v30
	v_lshl_add_u32 v46, v41, 2, v25
	v_mul_lo_u32 v45, v45, s7
	global_store_dword v[20:21], v47, off
	global_store_dword v[22:23], v46, off
	v_mul_lo_u32 v20, v48, s7
	v_mul_lo_u32 v21, v49, s7
	v_sub_u32_e32 v22, v24, v44
	v_addc_co_u32_e64 v31, s[0:1], v17, v31, s[0:1]
	v_sub_u32_e32 v23, v25, v45
	v_sub_u32_e32 v20, v26, v20
	;; [unrolled: 1-line block ×3, first 2 shown]
	v_subrev_u32_e32 v24, s7, v22
	v_cmp_le_u32_e64 s[10:11], s7, v22
	v_lshl_add_u32 v50, v43, 2, v27
	v_lshl_add_u32 v51, v42, 2, v26
	v_subrev_u32_e32 v25, s7, v23
	v_cmp_le_u32_e64 s[0:1], s7, v23
	v_subrev_u32_e32 v26, s7, v20
	v_cmp_le_u32_e64 s[2:3], s7, v20
	;; [unrolled: 2-line block ×3, first 2 shown]
	v_cndmask_b32_e64 v22, v22, v24, s[10:11]
	v_cndmask_b32_e64 v23, v23, v25, s[0:1]
	v_cndmask_b32_e64 v24, v20, v26, s[2:3]
	v_cndmask_b32_e64 v21, v21, v27, s[8:9]
	v_subrev_u32_e32 v20, s7, v22
	v_cmp_le_u32_e64 s[10:11], s7, v22
	v_subrev_u32_e32 v25, s7, v23
	v_cmp_le_u32_e64 s[0:1], s7, v23
	;; [unrolled: 2-line block ×4, first 2 shown]
	v_cndmask_b32_e64 v20, v22, v20, s[10:11]
	v_add_u32_e32 v3, 0x100, v3
	v_add_u32_e32 v2, 0x100, v2
	;; [unrolled: 1-line block ×3, first 2 shown]
	v_mov_b32_e32 v1, s22
	v_cndmask_b32_e64 v22, v23, v25, s[0:1]
	v_cndmask_b32_e64 v24, v24, v26, s[2:3]
	;; [unrolled: 1-line block ×3, first 2 shown]
	v_mad_u64_u32 v[20:21], s[0:1], v40, s42, v[20:21]
	global_store_dword v[28:29], v51, off
	global_store_dword v[30:31], v50, off
	v_mad_u64_u32 v[22:23], s[0:1], v41, s42, v[22:23]
	v_mad_u64_u32 v[26:27], s[0:1], v43, s42, v[26:27]
	;; [unrolled: 1-line block ×3, first 2 shown]
	global_store_dword v[32:33], v20, off
	global_store_dword v[34:35], v22, off
	;; [unrolled: 1-line block ×4, first 2 shown]
	s_andn2_b64 exec, exec, s[20:21]
	s_cbranch_execnz .LBB1_15
; %bb.16:
	s_or_b64 exec, exec, s[20:21]
	v_lshlrev_b32_e32 v15, 6, v1
.LBB1_17:
	s_or_b64 exec, exec, s[18:19]
	v_and_b32_e32 v1, 2, v14
	v_cmp_eq_u32_e64 s[0:1], 0, v1
	s_and_saveexec_b64 s[2:3], s[0:1]
	s_cbranch_execz .LBB1_19
; %bb.18:
	s_abs_i32 s7, s40
	v_cvt_f32_u32_e32 v16, s7
	v_add_u32_e32 v1, v0, v15
	v_lshl_add_u32 v1, v1, 2, 0
	ds_read2st64_b32 v[14:15], v1 offset1:1
	v_rcp_iflag_f32_e32 v1, v16
	s_sub_i32 s0, 0, s7
	v_add_u32_e32 v2, v2, v6
	v_add_u32_e32 v18, v3, v6
	v_mul_f32_e32 v1, 0x4f7ffffe, v1
	v_cvt_u32_f32_e32 v1, v1
	s_waitcnt lgkmcnt(0)
	v_and_b32_e32 v24, 0x3fffff, v14
	v_lshrrev_b32_e32 v27, 22, v14
	v_lshrrev_b32_e32 v26, 22, v15
	v_mul_lo_u32 v14, s0, v1
	v_mul_hi_u32 v14, v1, v14
	v_add_u32_e32 v1, v1, v14
	v_mul_hi_u32 v14, v27, v1
	v_mul_lo_u32 v14, v14, s7
	v_sub_u32_e32 v14, v27, v14
	v_and_b32_e32 v25, 0x3fffff, v15
	v_subrev_u32_e32 v15, s7, v14
	v_cmp_le_u32_e64 s[0:1], s7, v14
	v_mul_hi_u32 v1, v26, v1
	v_cndmask_b32_e64 v14, v14, v15, s[0:1]
	v_mul_lo_u32 v1, v1, s7
	v_subrev_u32_e32 v15, s7, v14
	v_cmp_le_u32_e64 s[0:1], s7, v14
	v_sub_u32_e32 v1, v26, v1
	v_cndmask_b32_e64 v14, v14, v15, s[0:1]
	v_subrev_u32_e32 v15, s7, v1
	v_cmp_le_u32_e64 s[0:1], s7, v1
	v_cndmask_b32_e64 v1, v1, v15, s[0:1]
	v_subrev_u32_e32 v15, s7, v1
	v_cmp_le_u32_e64 s[0:1], s7, v1
	v_cndmask_b32_e64 v16, v1, v15, s[0:1]
	v_ashrrev_i32_e32 v3, 31, v2
	v_mad_u64_u32 v[16:17], s[0:1], v25, s42, v[16:17]
	v_mad_u64_u32 v[14:15], s[0:1], v24, s42, v[14:15]
	v_lshlrev_b64 v[2:3], 2, v[2:3]
	v_ashrrev_i32_e32 v19, 31, v18
	v_mov_b32_e32 v1, s45
	v_add_co_u32_e64 v20, s[0:1], s44, v2
	v_addc_co_u32_e64 v21, s[0:1], v1, v3, s[0:1]
	v_lshlrev_b64 v[18:19], 2, v[18:19]
	v_add_co_u32_e64 v22, s[0:1], s44, v18
	v_addc_co_u32_e64 v23, s[0:1], v1, v19, s[0:1]
	v_mov_b32_e32 v15, s47
	v_add_co_u32_e64 v2, s[0:1], s46, v2
	v_addc_co_u32_e64 v3, s[0:1], v15, v3, s[0:1]
	global_store_dword v[20:21], v14, off
	global_store_dword v[22:23], v16, off
	v_lshl_add_u32 v16, v24, 2, v27
	v_add_co_u32_e64 v14, s[0:1], s46, v18
	v_lshl_add_u32 v1, v25, 2, v26
	v_addc_co_u32_e64 v15, s[0:1], v15, v19, s[0:1]
	global_store_dword v[2:3], v16, off
	global_store_dword v[14:15], v1, off
.LBB1_19:
	s_or_b64 exec, exec, s[2:3]
	v_add_u32_e32 v2, 1, v13
	v_and_b32_e32 v3, 0x7fffffe, v2
	v_cmp_ne_u32_e64 s[0:1], v2, v3
	v_lshl_add_u32 v1, v3, 6, v0
	s_orn2_b64 s[2:3], s[0:1], exec
.LBB1_20:
	s_or_b64 exec, exec, s[16:17]
	s_andn2_b64 s[0:1], vcc, exec
	s_and_b64 s[2:3], s[2:3], exec
	s_or_b64 vcc, s[0:1], s[2:3]
.LBB1_21:
	s_or_b64 exec, exec, s[14:15]
	s_and_b64 exec, exec, vcc
	s_cbranch_execz .LBB1_24
; %bb.22:
	s_abs_i32 s7, s40
	v_cvt_f32_u32_e32 v2, s7
	v_add_u32_e32 v3, v7, v9
	s_sub_i32 s0, 0, s7
	v_lshl_add_u32 v7, v1, 2, 0
	v_rcp_iflag_f32_e32 v2, v2
	s_mov_b64 s[2:3], 0
	v_mov_b32_e32 v9, s45
	v_mul_f32_e32 v2, 0x4f7ffffe, v2
	v_cvt_u32_f32_e32 v13, v2
	v_add3_u32 v2, v3, v8, v10
	v_add3_u32 v2, v2, v11, v12
	;; [unrolled: 1-line block ×3, first 2 shown]
	v_mul_lo_u32 v3, s0, v13
	v_mul_hi_u32 v3, v13, v3
	v_add_u32_e32 v5, v13, v3
	v_mov_b32_e32 v8, s47
.LBB1_23:                               ; =>This Inner Loop Header: Depth=1
	ds_read_b32 v14, v7
	v_ashrrev_i32_e32 v3, 31, v2
	v_lshlrev_b64 v[10:11], 2, v[2:3]
	v_add_co_u32_e64 v12, s[0:1], s44, v10
	v_addc_co_u32_e64 v13, s[0:1], v9, v11, s[0:1]
	s_waitcnt lgkmcnt(0)
	v_and_b32_e32 v3, 0x3fffff, v14
	v_lshrrev_b32_e32 v14, 22, v14
	v_add_co_u32_e64 v10, s[0:1], s46, v10
	v_mul_hi_u32 v15, v14, v5
	v_add_u32_e32 v1, 64, v1
	v_addc_co_u32_e64 v11, s[0:1], v8, v11, s[0:1]
	v_lshl_add_u32 v16, v3, 2, v14
	v_mul_lo_u32 v15, v15, s7
	v_cmp_ge_i32_e32 vcc, v1, v4
	global_store_dword v[10:11], v16, off
	v_sub_u32_e32 v10, v14, v15
	s_or_b64 s[2:3], vcc, s[2:3]
	v_subrev_u32_e32 v11, s7, v10
	v_cmp_le_u32_e32 vcc, s7, v10
	v_cndmask_b32_e32 v10, v10, v11, vcc
	v_subrev_u32_e32 v11, s7, v10
	v_cmp_le_u32_e32 vcc, s7, v10
	v_cndmask_b32_e32 v10, v10, v11, vcc
	v_add_u32_e32 v7, 0x100, v7
	v_add_u32_e32 v2, 64, v2
	v_mad_u64_u32 v[10:11], s[0:1], v3, s42, v[10:11]
	global_store_dword v[12:13], v10, off
	s_andn2_b64 exec, exec, s[2:3]
	s_cbranch_execnz .LBB1_23
.LBB1_24:
	s_or_b64 exec, exec, s[12:13]
	v_cmp_eq_u32_e32 vcc, 0, v0
	s_and_saveexec_b64 s[0:1], vcc
	s_cbranch_execz .LBB1_27
; %bb.25:
	s_load_dword s0, s[4:5], 0x38
	s_ashr_i32 s7, s6, 31
	s_lshl_b64 s[2:3], s[6:7], 2
	s_add_u32 s2, s38, s2
	s_addc_u32 s3, s39, s3
	s_waitcnt lgkmcnt(0)
	s_add_i32 s1, s0, -1
	v_mov_b32_e32 v0, 0
	s_cmp_lt_i32 s6, s1
	global_store_dword v0, v6, s[2:3]
	s_cbranch_scc1 .LBB1_27
; %bb.26:
	s_mov_b32 s1, 0
	s_lshl_b64 s[0:1], s[0:1], 2
	s_add_u32 s0, s38, s0
	s_addc_u32 s1, s39, s1
	v_add_u32_e32 v1, v6, v4
	global_store_dword v0, v1, s[0:1]
.LBB1_27:
	s_endpgm
	.section	.rodata,"a",@progbits
	.p2align	6, 0x0
	.amdhsa_kernel _ZL13mm_ids_helperILi4EEvPKiPiS2_S2_iiiii
		.amdhsa_group_segment_fixed_size 0
		.amdhsa_private_segment_fixed_size 0
		.amdhsa_kernarg_size 312
		.amdhsa_user_sgpr_count 6
		.amdhsa_user_sgpr_private_segment_buffer 1
		.amdhsa_user_sgpr_dispatch_ptr 0
		.amdhsa_user_sgpr_queue_ptr 0
		.amdhsa_user_sgpr_kernarg_segment_ptr 1
		.amdhsa_user_sgpr_dispatch_id 0
		.amdhsa_user_sgpr_flat_scratch_init 0
		.amdhsa_user_sgpr_kernarg_preload_length 0
		.amdhsa_user_sgpr_kernarg_preload_offset 0
		.amdhsa_user_sgpr_private_segment_size 0
		.amdhsa_uses_dynamic_stack 0
		.amdhsa_system_sgpr_private_segment_wavefront_offset 0
		.amdhsa_system_sgpr_workgroup_id_x 1
		.amdhsa_system_sgpr_workgroup_id_y 0
		.amdhsa_system_sgpr_workgroup_id_z 0
		.amdhsa_system_sgpr_workgroup_info 0
		.amdhsa_system_vgpr_workitem_id 0
		.amdhsa_next_free_vgpr 52
		.amdhsa_next_free_sgpr 50
		.amdhsa_accum_offset 52
		.amdhsa_reserve_vcc 1
		.amdhsa_reserve_flat_scratch 0
		.amdhsa_float_round_mode_32 0
		.amdhsa_float_round_mode_16_64 0
		.amdhsa_float_denorm_mode_32 3
		.amdhsa_float_denorm_mode_16_64 3
		.amdhsa_dx10_clamp 1
		.amdhsa_ieee_mode 1
		.amdhsa_fp16_overflow 0
		.amdhsa_tg_split 0
		.amdhsa_exception_fp_ieee_invalid_op 0
		.amdhsa_exception_fp_denorm_src 0
		.amdhsa_exception_fp_ieee_div_zero 0
		.amdhsa_exception_fp_ieee_overflow 0
		.amdhsa_exception_fp_ieee_underflow 0
		.amdhsa_exception_fp_ieee_inexact 0
		.amdhsa_exception_int_div_zero 0
	.end_amdhsa_kernel
	.section	.text._ZL13mm_ids_helperILi4EEvPKiPiS2_S2_iiiii,"axG",@progbits,_ZL13mm_ids_helperILi4EEvPKiPiS2_S2_iiiii,comdat
.Lfunc_end1:
	.size	_ZL13mm_ids_helperILi4EEvPKiPiS2_S2_iiiii, .Lfunc_end1-_ZL13mm_ids_helperILi4EEvPKiPiS2_S2_iiiii
                                        ; -- End function
	.section	.AMDGPU.csdata,"",@progbits
; Kernel info:
; codeLenInByte = 3268
; NumSgprs: 54
; NumVgprs: 52
; NumAgprs: 0
; TotalNumVgprs: 52
; ScratchSize: 0
; MemoryBound: 0
; FloatMode: 240
; IeeeMode: 1
; LDSByteSize: 0 bytes/workgroup (compile time only)
; SGPRBlocks: 6
; VGPRBlocks: 6
; NumSGPRsForWavesPerEU: 54
; NumVGPRsForWavesPerEU: 52
; AccumOffset: 52
; Occupancy: 8
; WaveLimiterHint : 0
; COMPUTE_PGM_RSRC2:SCRATCH_EN: 0
; COMPUTE_PGM_RSRC2:USER_SGPR: 6
; COMPUTE_PGM_RSRC2:TRAP_HANDLER: 0
; COMPUTE_PGM_RSRC2:TGID_X_EN: 1
; COMPUTE_PGM_RSRC2:TGID_Y_EN: 0
; COMPUTE_PGM_RSRC2:TGID_Z_EN: 0
; COMPUTE_PGM_RSRC2:TIDIG_COMP_CNT: 0
; COMPUTE_PGM_RSRC3_GFX90A:ACCUM_OFFSET: 12
; COMPUTE_PGM_RSRC3_GFX90A:TG_SPLIT: 0
	.section	.text._ZL13mm_ids_helperILi6EEvPKiPiS2_S2_iiiii,"axG",@progbits,_ZL13mm_ids_helperILi6EEvPKiPiS2_S2_iiiii,comdat
	.globl	_ZL13mm_ids_helperILi6EEvPKiPiS2_S2_iiiii ; -- Begin function _ZL13mm_ids_helperILi6EEvPKiPiS2_S2_iiiii
	.p2align	8
	.type	_ZL13mm_ids_helperILi6EEvPKiPiS2_S2_iiiii,@function
_ZL13mm_ids_helperILi6EEvPKiPiS2_S2_iiiii: ; @_ZL13mm_ids_helperILi6EEvPKiPiS2_S2_iiiii
; %bb.0:
	s_load_dword s7, s[4:5], 0x20
	s_load_dwordx4 s[24:27], s[4:5], 0x28
	s_mov_b32 s2, 0
	v_mbcnt_lo_u32_b32 v2, -1, 0
	s_waitcnt lgkmcnt(0)
	s_cmp_gt_i32 s7, 0
	s_cbranch_scc1 .LBB2_2
; %bb.1:
	v_mbcnt_hi_u32_b32 v1, -1, v2
	v_and_b32_e32 v7, 64, v1
	v_xor_b32_e32 v6, 4, v1
	v_xor_b32_e32 v11, 2, v1
	;; [unrolled: 1-line block ×3, first 2 shown]
	s_mov_b64 s[0:1], 0
	s_branch .LBB2_3
.LBB2_2:
	s_mov_b64 s[0:1], -1
                                        ; implicit-def: $sgpr2
                                        ; implicit-def: $vgpr1
                                        ; implicit-def: $vgpr7
                                        ; implicit-def: $vgpr6
                                        ; implicit-def: $vgpr11
                                        ; implicit-def: $vgpr12
.LBB2_3:
	s_load_dwordx4 s[28:31], s[4:5], 0x8
	s_load_dwordx2 s[22:23], s[4:5], 0x18
	s_andn2_b64 vcc, exec, s[0:1]
	v_mov_b32_e32 v5, s2
	v_mov_b32_e32 v4, s2
	s_cbranch_vccnz .LBB2_10
; %bb.4:
	v_mbcnt_hi_u32_b32 v1, -1, v2
	v_and_b32_e32 v2, 0x78, v1
	v_add_u32_e32 v2, 8, v2
	v_xor_b32_e32 v6, 4, v1
	v_cmp_lt_i32_e64 s[0:1], v6, v2
	v_xor_b32_e32 v11, 2, v1
	v_cndmask_b32_e64 v3, v1, v6, s[0:1]
	v_cmp_lt_i32_e64 s[0:1], v11, v2
	v_xor_b32_e32 v12, 1, v1
	v_lshlrev_b32_e32 v10, 2, v3
	v_cndmask_b32_e64 v3, v1, v11, s[0:1]
	v_cmp_lt_i32_e64 s[0:1], v12, v2
	v_cndmask_b32_e64 v2, v1, v12, s[0:1]
	v_lshlrev_b32_e32 v14, 2, v2
	v_bfrev_b32_e32 v2, 0.5
	v_and_b32_e32 v7, 64, v1
	v_lshl_or_b32 v15, v1, 2, v2
	v_add_u32_e32 v2, -8, v1
	v_cmp_lt_i32_e64 s[0:1], v2, v7
	v_cndmask_b32_e64 v2, v2, v1, s[0:1]
	v_lshlrev_b32_e32 v16, 2, v2
	v_add_u32_e32 v2, -16, v1
	v_cmp_lt_i32_e64 s[2:3], v2, v7
	v_cndmask_b32_e64 v2, v2, v1, s[2:3]
	v_lshlrev_b32_e32 v17, 2, v2
	v_subrev_u32_e32 v2, 24, v1
	v_cmp_lt_i32_e64 s[8:9], v2, v7
	v_cndmask_b32_e64 v2, v2, v1, s[8:9]
	v_lshlrev_b32_e32 v18, 2, v2
	v_subrev_u32_e32 v2, 32, v1
	;; [unrolled: 4-line block ×4, first 2 shown]
	v_cmp_lt_i32_e64 s[14:15], v2, v7
	s_load_dwordx2 s[34:35], s[4:5], 0x0
	v_cndmask_b32_e64 v2, v2, v1, s[14:15]
	v_lshlrev_b32_e32 v21, 2, v2
	v_subrev_u32_e32 v2, 56, v1
	v_cmp_lt_i32_e64 s[16:17], v2, v7
	v_lshrrev_b32_e32 v8, 3, v0
	v_and_b32_e32 v4, 7, v0
	v_mov_b32_e32 v5, 0
	v_cndmask_b32_e64 v2, v2, v1, s[16:17]
	v_cmp_gt_u32_e32 vcc, 6, v4
	v_lshlrev_b32_e32 v9, 22, v4
	s_mov_b32 s27, 0
	v_lshlrev_b32_e32 v13, 2, v3
	v_cmp_gt_u32_e64 s[0:1], 8, v0
	v_cmp_gt_u32_e64 s[2:3], 16, v0
	;; [unrolled: 1-line block ×6, first 2 shown]
	v_lshlrev_b32_e32 v22, 2, v2
	v_cmp_gt_u32_e64 s[16:17], 56, v0
	v_mad_u64_u32 v[2:3], s[18:19], s25, v8, v[4:5]
	s_lshl_b32 s25, s25, 3
	s_mov_b32 s33, 0x3fffff
	v_mov_b32_e32 v4, 0
	s_branch .LBB2_6
.LBB2_5:                                ;   in Loop: Header=BB2_6 Depth=1
	s_or_b64 exec, exec, s[20:21]
	v_add_u32_e32 v23, v25, v24
	ds_bpermute_b32 v23, v15, v23
	v_cmp_gt_i32_e64 s[18:19], s6, v3
	s_add_i32 s27, s27, 8
	v_addc_co_u32_e64 v5, s[18:19], 0, v5, s[18:19]
	s_waitcnt lgkmcnt(0)
	v_add_u32_e32 v4, v23, v4
	s_cmp_ge_i32 s27, s7
	v_add_u32_e32 v2, s25, v2
	s_cbranch_scc1 .LBB2_10
.LBB2_6:                                ; =>This Inner Loop Header: Depth=1
	v_add_u32_e32 v23, s27, v8
	v_cmp_gt_i32_e64 s[18:19], s7, v23
	s_and_b64 s[18:19], vcc, s[18:19]
	v_bfrev_b32_e32 v3, -2
	s_and_saveexec_b64 s[20:21], s[18:19]
	s_cbranch_execz .LBB2_8
; %bb.7:                                ;   in Loop: Header=BB2_6 Depth=1
	v_ashrrev_i32_e32 v3, 31, v2
	v_lshlrev_b64 v[24:25], 2, v[2:3]
	s_waitcnt lgkmcnt(0)
	v_mov_b32_e32 v3, s35
	v_add_co_u32_e64 v24, s[18:19], s34, v24
	v_addc_co_u32_e64 v25, s[18:19], v3, v25, s[18:19]
	global_load_dword v3, v[24:25], off
.LBB2_8:                                ;   in Loop: Header=BB2_6 Depth=1
	s_or_b64 exec, exec, s[20:21]
	s_waitcnt vmcnt(0)
	v_cmp_eq_u32_e64 s[18:19], s6, v3
	v_cndmask_b32_e64 v24, 0, 1, s[18:19]
	ds_bpermute_b32 v25, v10, v24
	s_waitcnt lgkmcnt(0)
	v_or_b32_e32 v24, v25, v24
	v_cmp_ne_u32_e64 s[20:21], 0, v24
	v_cndmask_b32_e64 v25, 0, 1, s[20:21]
	ds_bpermute_b32 v25, v13, v25
	s_waitcnt lgkmcnt(0)
	v_or_b32_e32 v24, v25, v24
	v_cmp_ne_u32_e64 s[20:21], 0, v24
	;; [unrolled: 5-line block ×3, first 2 shown]
	v_cndmask_b32_e64 v24, 0, 1, s[20:21]
	ds_bpermute_b32 v25, v16, v24
	ds_bpermute_b32 v26, v17, v24
	;; [unrolled: 1-line block ×7, first 2 shown]
	s_waitcnt lgkmcnt(6)
	v_cndmask_b32_e64 v25, v25, 0, s[0:1]
	s_waitcnt lgkmcnt(5)
	v_cndmask_b32_e64 v26, v26, 0, s[2:3]
	;; [unrolled: 2-line block ×5, first 2 shown]
	v_add3_u32 v25, v26, v25, v27
	s_waitcnt lgkmcnt(1)
	v_cndmask_b32_e64 v30, v30, 0, s[14:15]
	v_add3_u32 v25, v28, v25, v29
	s_waitcnt lgkmcnt(0)
	v_cndmask_b32_e64 v26, v31, 0, s[16:17]
	v_add3_u32 v25, v30, v25, v26
	s_and_saveexec_b64 s[20:21], s[18:19]
	s_cbranch_execz .LBB2_5
; %bb.9:                                ;   in Loop: Header=BB2_6 Depth=1
	v_lshlrev_b32_e32 v26, 2, v4
	v_lshlrev_b32_e32 v27, 2, v25
	v_add3_u32 v26, 0, v26, v27
	v_and_or_b32 v23, v23, s33, v9
	ds_write_b32 v26, v23
	s_branch .LBB2_5
.LBB2_10:
	v_add_u32_e32 v2, 64, v7
	v_xor_b32_e32 v3, 32, v1
	v_cmp_lt_i32_e32 vcc, v3, v2
	v_cndmask_b32_e32 v3, v1, v3, vcc
	v_lshlrev_b32_e32 v3, 2, v3
	ds_bpermute_b32 v7, v3, v5
	v_xor_b32_e32 v3, 16, v1
	v_cmp_lt_i32_e32 vcc, v3, v2
	v_cndmask_b32_e32 v3, v1, v3, vcc
	v_lshlrev_b32_e32 v3, 2, v3
	s_waitcnt lgkmcnt(0)
	v_add_u32_e32 v8, v7, v5
	ds_bpermute_b32 v9, v3, v8
	v_xor_b32_e32 v3, 8, v1
	v_cmp_lt_i32_e32 vcc, v3, v2
	v_cndmask_b32_e32 v3, v1, v3, vcc
	v_lshlrev_b32_e32 v3, 2, v3
	s_waitcnt lgkmcnt(0)
	v_add_u32_e32 v10, v9, v8
	ds_bpermute_b32 v8, v3, v10
	v_cmp_lt_i32_e32 vcc, v6, v2
	v_cndmask_b32_e32 v3, v1, v6, vcc
	v_lshlrev_b32_e32 v3, 2, v3
	v_cmp_lt_i32_e32 vcc, v11, v2
	s_waitcnt lgkmcnt(0)
	v_add_u32_e32 v6, v8, v10
	ds_bpermute_b32 v10, v3, v6
	v_cndmask_b32_e32 v3, v1, v11, vcc
	v_lshlrev_b32_e32 v3, 2, v3
	v_cmp_lt_i32_e32 vcc, v12, v2
	v_cndmask_b32_e32 v1, v1, v12, vcc
	s_waitcnt lgkmcnt(0)
	v_add_u32_e32 v6, v10, v6
	ds_bpermute_b32 v11, v3, v6
	v_lshlrev_b32_e32 v1, 2, v1
	v_cmp_lt_i32_e32 vcc, v0, v4
	s_waitcnt lgkmcnt(0)
	v_add_u32_e32 v2, v11, v6
	ds_bpermute_b32 v12, v1, v2
	s_waitcnt lgkmcnt(0)
	v_add_u32_e32 v6, v12, v2
	s_and_saveexec_b64 s[12:13], vcc
	s_cbranch_execz .LBB2_24
; %bb.11:
	v_xad_u32 v2, v0, -1, v4
	s_movk_i32 s0, 0x2c0
	v_cmp_gt_u32_e32 vcc, s0, v2
	s_movk_i32 s0, 0x2bf
	v_cmp_lt_u32_e64 s[0:1], s0, v2
	v_mov_b32_e32 v1, v0
	s_and_saveexec_b64 s[14:15], s[0:1]
	s_cbranch_execz .LBB2_21
; %bb.12:
	v_and_b32_e32 v1, 0xffffffc0, v2
	v_add_u32_e32 v3, v6, v0
	v_add_u32_e32 v1, v3, v1
	v_cmp_ge_i32_e64 s[0:1], v1, v3
	s_mov_b64 s[2:3], -1
	v_mov_b32_e32 v1, v0
	s_and_saveexec_b64 s[16:17], s[0:1]
	s_cbranch_execz .LBB2_20
; %bb.13:
	v_lshrrev_b32_e32 v13, 6, v2
	v_add_u32_e32 v1, 64, v0
	v_add_u32_e32 v14, -1, v13
	v_cmp_lt_u32_e64 s[0:1], 1, v14
	v_mov_b32_e32 v15, 0
	v_pk_mov_b32 v[2:3], v[0:1], v[0:1] op_sel:[0,1]
	s_and_saveexec_b64 s[18:19], s[0:1]
	s_cbranch_execz .LBB2_17
; %bb.14:
	s_abs_i32 s7, s24
	v_cvt_f32_u32_e32 v2, s7
	v_lshrrev_b32_e32 v3, 1, v14
	v_add_u32_e32 v3, 1, v3
	s_sub_i32 s0, 0, s7
	v_rcp_iflag_f32_e32 v2, v2
	v_and_b32_e32 v18, -2, v3
	s_mov_b32 s25, 0
	v_lshl_add_u32 v15, v0, 2, 0
	v_mul_f32_e32 v2, 0x4f7ffffe, v2
	v_cvt_u32_f32_e32 v2, v2
	s_mov_b64 s[20:21], 0
	v_mov_b32_e32 v16, s29
	v_mov_b32_e32 v17, s31
	v_mul_lo_u32 v3, s0, v2
	v_mul_hi_u32 v3, v2, v3
	v_add_u32_e32 v19, v2, v3
	v_pk_mov_b32 v[2:3], v[0:1], v[0:1] op_sel:[0,1]
.LBB2_15:                               ; =>This Inner Loop Header: Depth=1
	v_add_u32_e32 v20, v2, v6
	v_add_u32_e32 v18, -2, v18
	v_ashrrev_i32_e32 v21, 31, v20
	v_add_u32_e32 v22, v3, v6
	s_add_i32 s25, s25, 4
	v_add_u32_e32 v28, 0x80, v20
	v_cmp_eq_u32_e64 s[0:1], 0, v18
	v_lshlrev_b64 v[20:21], 2, v[20:21]
	v_ashrrev_i32_e32 v23, 31, v22
	s_or_b64 s[20:21], s[0:1], s[20:21]
	v_add_co_u32_e64 v32, s[0:1], s28, v20
	v_add_u32_e32 v30, 0x80, v22
	v_lshlrev_b64 v[22:23], 2, v[22:23]
	v_addc_co_u32_e64 v33, s[0:1], v16, v21, s[0:1]
	v_add_co_u32_e64 v34, s[0:1], s28, v22
	v_addc_co_u32_e64 v35, s[0:1], v16, v23, s[0:1]
	v_add_co_u32_e64 v20, s[0:1], s30, v20
	v_addc_co_u32_e64 v21, s[0:1], v17, v21, s[0:1]
	v_ashrrev_i32_e32 v29, 31, v28
	v_add_co_u32_e64 v22, s[0:1], s30, v22
	ds_read2st64_b32 v[24:25], v15 offset1:1
	ds_read2st64_b32 v[26:27], v15 offset0:2 offset1:3
	v_addc_co_u32_e64 v23, s[0:1], v17, v23, s[0:1]
	v_lshlrev_b64 v[28:29], 2, v[28:29]
	v_ashrrev_i32_e32 v31, 31, v30
	v_add_co_u32_e64 v36, s[0:1], s28, v28
	v_lshlrev_b64 v[30:31], 2, v[30:31]
	v_addc_co_u32_e64 v37, s[0:1], v16, v29, s[0:1]
	v_add_co_u32_e64 v38, s[0:1], s28, v30
	v_addc_co_u32_e64 v39, s[0:1], v16, v31, s[0:1]
	s_waitcnt lgkmcnt(1)
	v_and_b32_e32 v40, 0x3fffff, v24
	v_lshrrev_b32_e32 v24, 22, v24
	v_add_co_u32_e64 v28, s[0:1], s30, v28
	v_and_b32_e32 v41, 0x3fffff, v25
	v_lshrrev_b32_e32 v25, 22, v25
	s_waitcnt lgkmcnt(0)
	v_and_b32_e32 v42, 0x3fffff, v26
	v_and_b32_e32 v43, 0x3fffff, v27
	v_lshrrev_b32_e32 v27, 22, v27
	v_lshrrev_b32_e32 v26, 22, v26
	v_mul_hi_u32 v44, v24, v19
	v_addc_co_u32_e64 v29, s[0:1], v17, v29, s[0:1]
	v_mul_hi_u32 v45, v25, v19
	v_mad_u32_u24 v47, v40, 6, v24
	v_mul_hi_u32 v48, v26, v19
	v_mul_hi_u32 v49, v27, v19
	v_mul_lo_u32 v44, v44, s7
	v_add_co_u32_e64 v30, s[0:1], s30, v30
	v_mad_u32_u24 v46, v41, 6, v25
	v_mul_lo_u32 v45, v45, s7
	global_store_dword v[20:21], v47, off
	global_store_dword v[22:23], v46, off
	v_mul_lo_u32 v20, v48, s7
	v_mul_lo_u32 v21, v49, s7
	v_sub_u32_e32 v22, v24, v44
	v_addc_co_u32_e64 v31, s[0:1], v17, v31, s[0:1]
	v_sub_u32_e32 v23, v25, v45
	v_sub_u32_e32 v20, v26, v20
	;; [unrolled: 1-line block ×3, first 2 shown]
	v_subrev_u32_e32 v24, s7, v22
	v_cmp_le_u32_e64 s[10:11], s7, v22
	v_mad_u32_u24 v50, v43, 6, v27
	v_mad_u32_u24 v51, v42, 6, v26
	v_subrev_u32_e32 v25, s7, v23
	v_cmp_le_u32_e64 s[0:1], s7, v23
	v_subrev_u32_e32 v26, s7, v20
	v_cmp_le_u32_e64 s[2:3], s7, v20
	;; [unrolled: 2-line block ×3, first 2 shown]
	v_cndmask_b32_e64 v22, v22, v24, s[10:11]
	v_cndmask_b32_e64 v23, v23, v25, s[0:1]
	;; [unrolled: 1-line block ×4, first 2 shown]
	v_subrev_u32_e32 v20, s7, v22
	v_cmp_le_u32_e64 s[10:11], s7, v22
	v_subrev_u32_e32 v25, s7, v23
	v_cmp_le_u32_e64 s[0:1], s7, v23
	;; [unrolled: 2-line block ×4, first 2 shown]
	v_cndmask_b32_e64 v20, v22, v20, s[10:11]
	v_add_u32_e32 v3, 0x100, v3
	v_add_u32_e32 v2, 0x100, v2
	;; [unrolled: 1-line block ×3, first 2 shown]
	v_mov_b32_e32 v1, s25
	v_cndmask_b32_e64 v22, v23, v25, s[0:1]
	v_cndmask_b32_e64 v24, v24, v26, s[2:3]
	;; [unrolled: 1-line block ×3, first 2 shown]
	v_mad_u64_u32 v[20:21], s[0:1], v40, s26, v[20:21]
	global_store_dword v[28:29], v51, off
	global_store_dword v[30:31], v50, off
	v_mad_u64_u32 v[22:23], s[0:1], v41, s26, v[22:23]
	v_mad_u64_u32 v[26:27], s[0:1], v43, s26, v[26:27]
	;; [unrolled: 1-line block ×3, first 2 shown]
	global_store_dword v[32:33], v20, off
	global_store_dword v[34:35], v22, off
	;; [unrolled: 1-line block ×4, first 2 shown]
	s_andn2_b64 exec, exec, s[20:21]
	s_cbranch_execnz .LBB2_15
; %bb.16:
	s_or_b64 exec, exec, s[20:21]
	v_lshlrev_b32_e32 v15, 6, v1
.LBB2_17:
	s_or_b64 exec, exec, s[18:19]
	v_and_b32_e32 v1, 2, v14
	v_cmp_eq_u32_e64 s[0:1], 0, v1
	s_and_saveexec_b64 s[2:3], s[0:1]
	s_cbranch_execz .LBB2_19
; %bb.18:
	s_abs_i32 s7, s24
	v_cvt_f32_u32_e32 v16, s7
	v_add_u32_e32 v1, v0, v15
	v_lshl_add_u32 v1, v1, 2, 0
	ds_read2st64_b32 v[14:15], v1 offset1:1
	v_rcp_iflag_f32_e32 v1, v16
	s_sub_i32 s0, 0, s7
	v_add_u32_e32 v2, v2, v6
	v_add_u32_e32 v18, v3, v6
	v_mul_f32_e32 v1, 0x4f7ffffe, v1
	v_cvt_u32_f32_e32 v1, v1
	s_waitcnt lgkmcnt(0)
	v_and_b32_e32 v24, 0x3fffff, v14
	v_lshrrev_b32_e32 v27, 22, v14
	v_lshrrev_b32_e32 v26, 22, v15
	v_mul_lo_u32 v14, s0, v1
	v_mul_hi_u32 v14, v1, v14
	v_add_u32_e32 v1, v1, v14
	v_mul_hi_u32 v14, v27, v1
	v_mul_lo_u32 v14, v14, s7
	v_sub_u32_e32 v14, v27, v14
	v_and_b32_e32 v25, 0x3fffff, v15
	v_subrev_u32_e32 v15, s7, v14
	v_cmp_le_u32_e64 s[0:1], s7, v14
	v_mul_hi_u32 v1, v26, v1
	v_cndmask_b32_e64 v14, v14, v15, s[0:1]
	v_mul_lo_u32 v1, v1, s7
	v_subrev_u32_e32 v15, s7, v14
	v_cmp_le_u32_e64 s[0:1], s7, v14
	v_sub_u32_e32 v1, v26, v1
	v_cndmask_b32_e64 v14, v14, v15, s[0:1]
	v_subrev_u32_e32 v15, s7, v1
	v_cmp_le_u32_e64 s[0:1], s7, v1
	v_cndmask_b32_e64 v1, v1, v15, s[0:1]
	v_subrev_u32_e32 v15, s7, v1
	v_cmp_le_u32_e64 s[0:1], s7, v1
	v_cndmask_b32_e64 v16, v1, v15, s[0:1]
	v_ashrrev_i32_e32 v3, 31, v2
	v_mad_u64_u32 v[16:17], s[0:1], v25, s26, v[16:17]
	v_mad_u64_u32 v[14:15], s[0:1], v24, s26, v[14:15]
	v_lshlrev_b64 v[2:3], 2, v[2:3]
	v_ashrrev_i32_e32 v19, 31, v18
	v_mov_b32_e32 v1, s29
	v_add_co_u32_e64 v20, s[0:1], s28, v2
	v_addc_co_u32_e64 v21, s[0:1], v1, v3, s[0:1]
	v_lshlrev_b64 v[18:19], 2, v[18:19]
	v_add_co_u32_e64 v22, s[0:1], s28, v18
	v_addc_co_u32_e64 v23, s[0:1], v1, v19, s[0:1]
	v_mov_b32_e32 v15, s31
	v_add_co_u32_e64 v2, s[0:1], s30, v2
	v_addc_co_u32_e64 v3, s[0:1], v15, v3, s[0:1]
	global_store_dword v[20:21], v14, off
	global_store_dword v[22:23], v16, off
	v_mad_u32_u24 v16, v24, 6, v27
	v_add_co_u32_e64 v14, s[0:1], s30, v18
	v_mad_u32_u24 v1, v25, 6, v26
	v_addc_co_u32_e64 v15, s[0:1], v15, v19, s[0:1]
	global_store_dword v[2:3], v16, off
	global_store_dword v[14:15], v1, off
.LBB2_19:
	s_or_b64 exec, exec, s[2:3]
	v_add_u32_e32 v2, 1, v13
	v_and_b32_e32 v3, 0x7fffffe, v2
	v_cmp_ne_u32_e64 s[0:1], v2, v3
	v_lshl_add_u32 v1, v3, 6, v0
	s_orn2_b64 s[2:3], s[0:1], exec
.LBB2_20:
	s_or_b64 exec, exec, s[16:17]
	s_andn2_b64 s[0:1], vcc, exec
	s_and_b64 s[2:3], s[2:3], exec
	s_or_b64 vcc, s[0:1], s[2:3]
.LBB2_21:
	s_or_b64 exec, exec, s[14:15]
	s_and_b64 exec, exec, vcc
	s_cbranch_execz .LBB2_24
; %bb.22:
	s_abs_i32 s7, s24
	v_cvt_f32_u32_e32 v2, s7
	v_add_u32_e32 v3, v7, v9
	s_sub_i32 s0, 0, s7
	v_lshl_add_u32 v7, v1, 2, 0
	v_rcp_iflag_f32_e32 v2, v2
	s_mov_b64 s[2:3], 0
	v_mov_b32_e32 v9, s29
	v_mul_f32_e32 v2, 0x4f7ffffe, v2
	v_cvt_u32_f32_e32 v13, v2
	v_add3_u32 v2, v3, v8, v10
	v_add3_u32 v2, v2, v11, v12
	;; [unrolled: 1-line block ×3, first 2 shown]
	v_mul_lo_u32 v3, s0, v13
	v_mul_hi_u32 v3, v13, v3
	v_add_u32_e32 v5, v13, v3
	v_mov_b32_e32 v8, s31
.LBB2_23:                               ; =>This Inner Loop Header: Depth=1
	ds_read_b32 v14, v7
	v_ashrrev_i32_e32 v3, 31, v2
	v_lshlrev_b64 v[10:11], 2, v[2:3]
	v_add_co_u32_e64 v12, s[0:1], s28, v10
	v_addc_co_u32_e64 v13, s[0:1], v9, v11, s[0:1]
	s_waitcnt lgkmcnt(0)
	v_and_b32_e32 v3, 0x3fffff, v14
	v_lshrrev_b32_e32 v14, 22, v14
	v_add_co_u32_e64 v10, s[0:1], s30, v10
	v_mul_hi_u32 v15, v14, v5
	v_add_u32_e32 v1, 64, v1
	v_addc_co_u32_e64 v11, s[0:1], v8, v11, s[0:1]
	v_mad_u32_u24 v16, v3, 6, v14
	v_mul_lo_u32 v15, v15, s7
	v_cmp_ge_i32_e32 vcc, v1, v4
	global_store_dword v[10:11], v16, off
	v_sub_u32_e32 v10, v14, v15
	s_or_b64 s[2:3], vcc, s[2:3]
	v_subrev_u32_e32 v11, s7, v10
	v_cmp_le_u32_e32 vcc, s7, v10
	v_cndmask_b32_e32 v10, v10, v11, vcc
	v_subrev_u32_e32 v11, s7, v10
	v_cmp_le_u32_e32 vcc, s7, v10
	v_cndmask_b32_e32 v10, v10, v11, vcc
	v_add_u32_e32 v7, 0x100, v7
	v_add_u32_e32 v2, 64, v2
	v_mad_u64_u32 v[10:11], s[0:1], v3, s26, v[10:11]
	global_store_dword v[12:13], v10, off
	s_andn2_b64 exec, exec, s[2:3]
	s_cbranch_execnz .LBB2_23
.LBB2_24:
	s_or_b64 exec, exec, s[12:13]
	v_cmp_eq_u32_e32 vcc, 0, v0
	s_and_saveexec_b64 s[0:1], vcc
	s_cbranch_execz .LBB2_27
; %bb.25:
	s_load_dword s0, s[4:5], 0x38
	s_ashr_i32 s7, s6, 31
	s_lshl_b64 s[2:3], s[6:7], 2
	s_add_u32 s2, s22, s2
	s_addc_u32 s3, s23, s3
	s_waitcnt lgkmcnt(0)
	s_add_i32 s1, s0, -1
	v_mov_b32_e32 v0, 0
	s_cmp_lt_i32 s6, s1
	global_store_dword v0, v6, s[2:3]
	s_cbranch_scc1 .LBB2_27
; %bb.26:
	s_mov_b32 s1, 0
	s_lshl_b64 s[0:1], s[0:1], 2
	s_add_u32 s0, s22, s0
	s_addc_u32 s1, s23, s1
	v_add_u32_e32 v1, v6, v4
	global_store_dword v0, v1, s[0:1]
.LBB2_27:
	s_endpgm
	.section	.rodata,"a",@progbits
	.p2align	6, 0x0
	.amdhsa_kernel _ZL13mm_ids_helperILi6EEvPKiPiS2_S2_iiiii
		.amdhsa_group_segment_fixed_size 0
		.amdhsa_private_segment_fixed_size 0
		.amdhsa_kernarg_size 312
		.amdhsa_user_sgpr_count 6
		.amdhsa_user_sgpr_private_segment_buffer 1
		.amdhsa_user_sgpr_dispatch_ptr 0
		.amdhsa_user_sgpr_queue_ptr 0
		.amdhsa_user_sgpr_kernarg_segment_ptr 1
		.amdhsa_user_sgpr_dispatch_id 0
		.amdhsa_user_sgpr_flat_scratch_init 0
		.amdhsa_user_sgpr_kernarg_preload_length 0
		.amdhsa_user_sgpr_kernarg_preload_offset 0
		.amdhsa_user_sgpr_private_segment_size 0
		.amdhsa_uses_dynamic_stack 0
		.amdhsa_system_sgpr_private_segment_wavefront_offset 0
		.amdhsa_system_sgpr_workgroup_id_x 1
		.amdhsa_system_sgpr_workgroup_id_y 0
		.amdhsa_system_sgpr_workgroup_id_z 0
		.amdhsa_system_sgpr_workgroup_info 0
		.amdhsa_system_vgpr_workitem_id 0
		.amdhsa_next_free_vgpr 52
		.amdhsa_next_free_sgpr 36
		.amdhsa_accum_offset 52
		.amdhsa_reserve_vcc 1
		.amdhsa_reserve_flat_scratch 0
		.amdhsa_float_round_mode_32 0
		.amdhsa_float_round_mode_16_64 0
		.amdhsa_float_denorm_mode_32 3
		.amdhsa_float_denorm_mode_16_64 3
		.amdhsa_dx10_clamp 1
		.amdhsa_ieee_mode 1
		.amdhsa_fp16_overflow 0
		.amdhsa_tg_split 0
		.amdhsa_exception_fp_ieee_invalid_op 0
		.amdhsa_exception_fp_denorm_src 0
		.amdhsa_exception_fp_ieee_div_zero 0
		.amdhsa_exception_fp_ieee_overflow 0
		.amdhsa_exception_fp_ieee_underflow 0
		.amdhsa_exception_fp_ieee_inexact 0
		.amdhsa_exception_int_div_zero 0
	.end_amdhsa_kernel
	.section	.text._ZL13mm_ids_helperILi6EEvPKiPiS2_S2_iiiii,"axG",@progbits,_ZL13mm_ids_helperILi6EEvPKiPiS2_S2_iiiii,comdat
.Lfunc_end2:
	.size	_ZL13mm_ids_helperILi6EEvPKiPiS2_S2_iiiii, .Lfunc_end2-_ZL13mm_ids_helperILi6EEvPKiPiS2_S2_iiiii
                                        ; -- End function
	.section	.AMDGPU.csdata,"",@progbits
; Kernel info:
; codeLenInByte = 2912
; NumSgprs: 40
; NumVgprs: 52
; NumAgprs: 0
; TotalNumVgprs: 52
; ScratchSize: 0
; MemoryBound: 0
; FloatMode: 240
; IeeeMode: 1
; LDSByteSize: 0 bytes/workgroup (compile time only)
; SGPRBlocks: 4
; VGPRBlocks: 6
; NumSGPRsForWavesPerEU: 40
; NumVGPRsForWavesPerEU: 52
; AccumOffset: 52
; Occupancy: 8
; WaveLimiterHint : 0
; COMPUTE_PGM_RSRC2:SCRATCH_EN: 0
; COMPUTE_PGM_RSRC2:USER_SGPR: 6
; COMPUTE_PGM_RSRC2:TRAP_HANDLER: 0
; COMPUTE_PGM_RSRC2:TGID_X_EN: 1
; COMPUTE_PGM_RSRC2:TGID_Y_EN: 0
; COMPUTE_PGM_RSRC2:TGID_Z_EN: 0
; COMPUTE_PGM_RSRC2:TIDIG_COMP_CNT: 0
; COMPUTE_PGM_RSRC3_GFX90A:ACCUM_OFFSET: 12
; COMPUTE_PGM_RSRC3_GFX90A:TG_SPLIT: 0
	.section	.text._ZL13mm_ids_helperILi8EEvPKiPiS2_S2_iiiii,"axG",@progbits,_ZL13mm_ids_helperILi8EEvPKiPiS2_S2_iiiii,comdat
	.globl	_ZL13mm_ids_helperILi8EEvPKiPiS2_S2_iiiii ; -- Begin function _ZL13mm_ids_helperILi8EEvPKiPiS2_S2_iiiii
	.p2align	8
	.type	_ZL13mm_ids_helperILi8EEvPKiPiS2_S2_iiiii,@function
_ZL13mm_ids_helperILi8EEvPKiPiS2_S2_iiiii: ; @_ZL13mm_ids_helperILi8EEvPKiPiS2_S2_iiiii
; %bb.0:
	s_load_dword s7, s[4:5], 0x20
	s_load_dwordx4 s[20:23], s[4:5], 0x28
	s_mov_b32 s2, 0
	v_mbcnt_lo_u32_b32 v2, -1, 0
	s_waitcnt lgkmcnt(0)
	s_cmp_gt_i32 s7, 0
	s_cbranch_scc1 .LBB3_2
; %bb.1:
	v_mbcnt_hi_u32_b32 v1, -1, v2
	v_and_b32_e32 v7, 64, v1
	v_xor_b32_e32 v6, 4, v1
	v_xor_b32_e32 v11, 2, v1
	;; [unrolled: 1-line block ×3, first 2 shown]
	s_mov_b64 s[0:1], 0
	s_branch .LBB3_3
.LBB3_2:
	s_mov_b64 s[0:1], -1
                                        ; implicit-def: $sgpr2
                                        ; implicit-def: $vgpr1
                                        ; implicit-def: $vgpr7
                                        ; implicit-def: $vgpr6
                                        ; implicit-def: $vgpr11
                                        ; implicit-def: $vgpr12
.LBB3_3:
	s_load_dwordx4 s[24:27], s[4:5], 0x8
	s_load_dwordx2 s[28:29], s[4:5], 0x18
	s_andn2_b64 vcc, exec, s[0:1]
	v_mov_b32_e32 v5, s2
	v_mov_b32_e32 v4, s2
	s_cbranch_vccnz .LBB3_10
; %bb.4:
	v_mbcnt_hi_u32_b32 v1, -1, v2
	v_and_b32_e32 v2, 0x78, v1
	v_add_u32_e32 v2, 8, v2
	v_xor_b32_e32 v6, 4, v1
	v_cmp_lt_i32_e32 vcc, v6, v2
	v_xor_b32_e32 v11, 2, v1
	v_cndmask_b32_e32 v3, v1, v6, vcc
	v_cmp_lt_i32_e32 vcc, v11, v2
	v_xor_b32_e32 v12, 1, v1
	v_lshlrev_b32_e32 v10, 2, v3
	v_cndmask_b32_e32 v3, v1, v11, vcc
	v_cmp_lt_i32_e32 vcc, v12, v2
	v_cndmask_b32_e32 v2, v1, v12, vcc
	v_lshlrev_b32_e32 v14, 2, v2
	v_bfrev_b32_e32 v2, 0.5
	v_and_b32_e32 v7, 64, v1
	v_lshl_or_b32 v15, v1, 2, v2
	v_add_u32_e32 v2, -8, v1
	v_cmp_lt_i32_e32 vcc, v2, v7
	v_cndmask_b32_e32 v2, v2, v1, vcc
	v_lshlrev_b32_e32 v16, 2, v2
	v_add_u32_e32 v2, -16, v1
	v_cmp_lt_i32_e64 s[0:1], v2, v7
	v_cndmask_b32_e64 v2, v2, v1, s[0:1]
	v_lshlrev_b32_e32 v17, 2, v2
	v_subrev_u32_e32 v2, 24, v1
	v_cmp_lt_i32_e64 s[2:3], v2, v7
	v_cndmask_b32_e64 v2, v2, v1, s[2:3]
	v_lshlrev_b32_e32 v18, 2, v2
	v_subrev_u32_e32 v2, 32, v1
	;; [unrolled: 4-line block ×4, first 2 shown]
	v_cmp_lt_i32_e64 s[12:13], v2, v7
	s_load_dwordx2 s[30:31], s[4:5], 0x0
	v_cndmask_b32_e64 v2, v2, v1, s[12:13]
	v_lshlrev_b32_e32 v21, 2, v2
	v_subrev_u32_e32 v2, 56, v1
	v_cmp_lt_i32_e64 s[14:15], v2, v7
	v_lshrrev_b32_e32 v8, 3, v0
	v_and_b32_e32 v4, 7, v0
	v_mov_b32_e32 v5, 0
	v_cndmask_b32_e64 v2, v2, v1, s[14:15]
	v_lshlrev_b32_e32 v9, 22, v4
	s_mov_b32 s23, 0
	v_lshlrev_b32_e32 v13, 2, v3
	v_cmp_gt_u32_e32 vcc, 8, v0
	v_cmp_gt_u32_e64 s[0:1], 16, v0
	v_cmp_gt_u32_e64 s[2:3], 24, v0
	;; [unrolled: 1-line block ×5, first 2 shown]
	v_lshlrev_b32_e32 v22, 2, v2
	v_cmp_gt_u32_e64 s[14:15], 56, v0
	v_mad_u64_u32 v[2:3], s[16:17], s21, v8, v[4:5]
	s_lshl_b32 s21, s21, 3
	s_mov_b32 s33, 0x3fffff
	v_mov_b32_e32 v4, 0
	s_branch .LBB3_6
.LBB3_5:                                ;   in Loop: Header=BB3_6 Depth=1
	s_or_b64 exec, exec, s[18:19]
	v_add_u32_e32 v23, v25, v24
	ds_bpermute_b32 v23, v15, v23
	v_cmp_gt_i32_e64 s[16:17], s6, v3
	s_add_i32 s23, s23, 8
	v_addc_co_u32_e64 v5, s[16:17], 0, v5, s[16:17]
	s_waitcnt lgkmcnt(0)
	v_add_u32_e32 v4, v23, v4
	s_cmp_ge_i32 s23, s7
	v_add_u32_e32 v2, s21, v2
	s_cbranch_scc1 .LBB3_10
.LBB3_6:                                ; =>This Inner Loop Header: Depth=1
	v_add_u32_e32 v23, s23, v8
	v_cmp_gt_i32_e64 s[16:17], s7, v23
	v_bfrev_b32_e32 v3, -2
	s_and_saveexec_b64 s[18:19], s[16:17]
	s_cbranch_execz .LBB3_8
; %bb.7:                                ;   in Loop: Header=BB3_6 Depth=1
	v_ashrrev_i32_e32 v3, 31, v2
	v_lshlrev_b64 v[24:25], 2, v[2:3]
	s_waitcnt lgkmcnt(0)
	v_mov_b32_e32 v3, s31
	v_add_co_u32_e64 v24, s[16:17], s30, v24
	v_addc_co_u32_e64 v25, s[16:17], v3, v25, s[16:17]
	global_load_dword v3, v[24:25], off
.LBB3_8:                                ;   in Loop: Header=BB3_6 Depth=1
	s_or_b64 exec, exec, s[18:19]
	s_waitcnt vmcnt(0)
	v_cmp_eq_u32_e64 s[16:17], s6, v3
	v_cndmask_b32_e64 v24, 0, 1, s[16:17]
	ds_bpermute_b32 v25, v10, v24
	s_waitcnt lgkmcnt(0)
	v_or_b32_e32 v24, v25, v24
	v_cmp_ne_u32_e64 s[18:19], 0, v24
	v_cndmask_b32_e64 v25, 0, 1, s[18:19]
	ds_bpermute_b32 v25, v13, v25
	s_waitcnt lgkmcnt(0)
	v_or_b32_e32 v24, v25, v24
	v_cmp_ne_u32_e64 s[18:19], 0, v24
	;; [unrolled: 5-line block ×3, first 2 shown]
	v_cndmask_b32_e64 v24, 0, 1, s[18:19]
	ds_bpermute_b32 v25, v16, v24
	ds_bpermute_b32 v26, v17, v24
	;; [unrolled: 1-line block ×7, first 2 shown]
	s_waitcnt lgkmcnt(6)
	v_cndmask_b32_e64 v25, v25, 0, vcc
	s_waitcnt lgkmcnt(5)
	v_cndmask_b32_e64 v26, v26, 0, s[0:1]
	s_waitcnt lgkmcnt(4)
	v_cndmask_b32_e64 v27, v27, 0, s[2:3]
	;; [unrolled: 2-line block ×4, first 2 shown]
	v_add3_u32 v25, v26, v25, v27
	s_waitcnt lgkmcnt(1)
	v_cndmask_b32_e64 v30, v30, 0, s[12:13]
	v_add3_u32 v25, v28, v25, v29
	s_waitcnt lgkmcnt(0)
	v_cndmask_b32_e64 v26, v31, 0, s[14:15]
	v_add3_u32 v25, v30, v25, v26
	s_and_saveexec_b64 s[18:19], s[16:17]
	s_cbranch_execz .LBB3_5
; %bb.9:                                ;   in Loop: Header=BB3_6 Depth=1
	v_lshlrev_b32_e32 v26, 2, v4
	v_lshlrev_b32_e32 v27, 2, v25
	v_add3_u32 v26, 0, v26, v27
	v_and_or_b32 v23, v23, s33, v9
	ds_write_b32 v26, v23
	s_branch .LBB3_5
.LBB3_10:
	v_add_u32_e32 v2, 64, v7
	v_xor_b32_e32 v3, 32, v1
	v_cmp_lt_i32_e32 vcc, v3, v2
	v_cndmask_b32_e32 v3, v1, v3, vcc
	v_lshlrev_b32_e32 v3, 2, v3
	ds_bpermute_b32 v7, v3, v5
	v_xor_b32_e32 v3, 16, v1
	v_cmp_lt_i32_e32 vcc, v3, v2
	v_cndmask_b32_e32 v3, v1, v3, vcc
	v_lshlrev_b32_e32 v3, 2, v3
	s_waitcnt lgkmcnt(0)
	v_add_u32_e32 v8, v7, v5
	ds_bpermute_b32 v9, v3, v8
	v_xor_b32_e32 v3, 8, v1
	v_cmp_lt_i32_e32 vcc, v3, v2
	v_cndmask_b32_e32 v3, v1, v3, vcc
	v_lshlrev_b32_e32 v3, 2, v3
	s_waitcnt lgkmcnt(0)
	v_add_u32_e32 v10, v9, v8
	ds_bpermute_b32 v8, v3, v10
	v_cmp_lt_i32_e32 vcc, v6, v2
	v_cndmask_b32_e32 v3, v1, v6, vcc
	v_lshlrev_b32_e32 v3, 2, v3
	v_cmp_lt_i32_e32 vcc, v11, v2
	s_waitcnt lgkmcnt(0)
	v_add_u32_e32 v6, v8, v10
	ds_bpermute_b32 v10, v3, v6
	v_cndmask_b32_e32 v3, v1, v11, vcc
	v_lshlrev_b32_e32 v3, 2, v3
	v_cmp_lt_i32_e32 vcc, v12, v2
	v_cndmask_b32_e32 v1, v1, v12, vcc
	s_waitcnt lgkmcnt(0)
	v_add_u32_e32 v6, v10, v6
	ds_bpermute_b32 v11, v3, v6
	v_lshlrev_b32_e32 v1, 2, v1
	v_cmp_lt_i32_e32 vcc, v0, v4
	s_waitcnt lgkmcnt(0)
	v_add_u32_e32 v2, v11, v6
	ds_bpermute_b32 v12, v1, v2
	s_waitcnt lgkmcnt(0)
	v_add_u32_e32 v6, v12, v2
	s_and_saveexec_b64 s[12:13], vcc
	s_cbranch_execz .LBB3_24
; %bb.11:
	v_xad_u32 v2, v0, -1, v4
	s_movk_i32 s0, 0x2c0
	v_cmp_gt_u32_e32 vcc, s0, v2
	s_movk_i32 s0, 0x2bf
	v_cmp_lt_u32_e64 s[0:1], s0, v2
	v_mov_b32_e32 v1, v0
	s_and_saveexec_b64 s[14:15], s[0:1]
	s_cbranch_execz .LBB3_21
; %bb.12:
	v_and_b32_e32 v1, 0xffffffc0, v2
	v_add_u32_e32 v3, v6, v0
	v_add_u32_e32 v1, v3, v1
	v_cmp_ge_i32_e64 s[0:1], v1, v3
	s_mov_b64 s[2:3], -1
	v_mov_b32_e32 v1, v0
	s_and_saveexec_b64 s[16:17], s[0:1]
	s_cbranch_execz .LBB3_20
; %bb.13:
	v_lshrrev_b32_e32 v13, 6, v2
	v_add_u32_e32 v1, 64, v0
	v_add_u32_e32 v14, -1, v13
	v_cmp_lt_u32_e64 s[0:1], 1, v14
	v_mov_b32_e32 v15, 0
	v_pk_mov_b32 v[2:3], v[0:1], v[0:1] op_sel:[0,1]
	s_and_saveexec_b64 s[18:19], s[0:1]
	s_cbranch_execz .LBB3_17
; %bb.14:
	s_abs_i32 s7, s20
	v_cvt_f32_u32_e32 v2, s7
	v_lshrrev_b32_e32 v3, 1, v14
	v_add_u32_e32 v3, 1, v3
	s_sub_i32 s0, 0, s7
	v_rcp_iflag_f32_e32 v2, v2
	v_and_b32_e32 v18, -2, v3
	s_mov_b32 s21, 0
	v_lshl_add_u32 v15, v0, 2, 0
	v_mul_f32_e32 v2, 0x4f7ffffe, v2
	v_cvt_u32_f32_e32 v2, v2
	s_mov_b64 s[30:31], 0
	v_mov_b32_e32 v16, s25
	v_mov_b32_e32 v17, s27
	v_mul_lo_u32 v3, s0, v2
	v_mul_hi_u32 v3, v2, v3
	v_add_u32_e32 v19, v2, v3
	v_pk_mov_b32 v[2:3], v[0:1], v[0:1] op_sel:[0,1]
.LBB3_15:                               ; =>This Inner Loop Header: Depth=1
	v_add_u32_e32 v20, v2, v6
	v_add_u32_e32 v18, -2, v18
	v_ashrrev_i32_e32 v21, 31, v20
	v_add_u32_e32 v22, v3, v6
	s_add_i32 s21, s21, 4
	v_add_u32_e32 v28, 0x80, v20
	v_cmp_eq_u32_e64 s[0:1], 0, v18
	v_lshlrev_b64 v[20:21], 2, v[20:21]
	v_ashrrev_i32_e32 v23, 31, v22
	s_or_b64 s[30:31], s[0:1], s[30:31]
	v_add_co_u32_e64 v32, s[0:1], s24, v20
	v_add_u32_e32 v30, 0x80, v22
	v_lshlrev_b64 v[22:23], 2, v[22:23]
	v_addc_co_u32_e64 v33, s[0:1], v16, v21, s[0:1]
	v_add_co_u32_e64 v34, s[0:1], s24, v22
	v_addc_co_u32_e64 v35, s[0:1], v16, v23, s[0:1]
	v_add_co_u32_e64 v20, s[0:1], s26, v20
	v_addc_co_u32_e64 v21, s[0:1], v17, v21, s[0:1]
	v_ashrrev_i32_e32 v29, 31, v28
	v_add_co_u32_e64 v22, s[0:1], s26, v22
	ds_read2st64_b32 v[24:25], v15 offset1:1
	ds_read2st64_b32 v[26:27], v15 offset0:2 offset1:3
	v_addc_co_u32_e64 v23, s[0:1], v17, v23, s[0:1]
	v_lshlrev_b64 v[28:29], 2, v[28:29]
	v_ashrrev_i32_e32 v31, 31, v30
	v_add_co_u32_e64 v36, s[0:1], s24, v28
	v_lshlrev_b64 v[30:31], 2, v[30:31]
	v_addc_co_u32_e64 v37, s[0:1], v16, v29, s[0:1]
	v_add_co_u32_e64 v38, s[0:1], s24, v30
	v_addc_co_u32_e64 v39, s[0:1], v16, v31, s[0:1]
	s_waitcnt lgkmcnt(1)
	v_and_b32_e32 v40, 0x3fffff, v24
	v_lshrrev_b32_e32 v24, 22, v24
	v_add_co_u32_e64 v28, s[0:1], s26, v28
	v_and_b32_e32 v41, 0x3fffff, v25
	v_lshrrev_b32_e32 v25, 22, v25
	s_waitcnt lgkmcnt(0)
	v_and_b32_e32 v42, 0x3fffff, v26
	v_and_b32_e32 v43, 0x3fffff, v27
	v_lshrrev_b32_e32 v27, 22, v27
	v_lshrrev_b32_e32 v26, 22, v26
	v_mul_hi_u32 v44, v24, v19
	v_addc_co_u32_e64 v29, s[0:1], v17, v29, s[0:1]
	v_mul_hi_u32 v45, v25, v19
	v_lshl_add_u32 v47, v40, 3, v24
	v_mul_hi_u32 v48, v26, v19
	v_mul_hi_u32 v49, v27, v19
	v_mul_lo_u32 v44, v44, s7
	v_add_co_u32_e64 v30, s[0:1], s26, v30
	v_lshl_add_u32 v46, v41, 3, v25
	v_mul_lo_u32 v45, v45, s7
	global_store_dword v[20:21], v47, off
	global_store_dword v[22:23], v46, off
	v_mul_lo_u32 v20, v48, s7
	v_mul_lo_u32 v21, v49, s7
	v_sub_u32_e32 v22, v24, v44
	v_addc_co_u32_e64 v31, s[0:1], v17, v31, s[0:1]
	v_sub_u32_e32 v23, v25, v45
	v_sub_u32_e32 v20, v26, v20
	;; [unrolled: 1-line block ×3, first 2 shown]
	v_subrev_u32_e32 v24, s7, v22
	v_cmp_le_u32_e64 s[10:11], s7, v22
	v_lshl_add_u32 v50, v43, 3, v27
	v_lshl_add_u32 v51, v42, 3, v26
	v_subrev_u32_e32 v25, s7, v23
	v_cmp_le_u32_e64 s[0:1], s7, v23
	v_subrev_u32_e32 v26, s7, v20
	v_cmp_le_u32_e64 s[2:3], s7, v20
	;; [unrolled: 2-line block ×3, first 2 shown]
	v_cndmask_b32_e64 v22, v22, v24, s[10:11]
	v_cndmask_b32_e64 v23, v23, v25, s[0:1]
	;; [unrolled: 1-line block ×4, first 2 shown]
	v_subrev_u32_e32 v20, s7, v22
	v_cmp_le_u32_e64 s[10:11], s7, v22
	v_subrev_u32_e32 v25, s7, v23
	v_cmp_le_u32_e64 s[0:1], s7, v23
	;; [unrolled: 2-line block ×4, first 2 shown]
	v_cndmask_b32_e64 v20, v22, v20, s[10:11]
	v_add_u32_e32 v3, 0x100, v3
	v_add_u32_e32 v2, 0x100, v2
	;; [unrolled: 1-line block ×3, first 2 shown]
	v_mov_b32_e32 v1, s21
	v_cndmask_b32_e64 v22, v23, v25, s[0:1]
	v_cndmask_b32_e64 v24, v24, v26, s[2:3]
	;; [unrolled: 1-line block ×3, first 2 shown]
	v_mad_u64_u32 v[20:21], s[0:1], v40, s22, v[20:21]
	global_store_dword v[28:29], v51, off
	global_store_dword v[30:31], v50, off
	v_mad_u64_u32 v[22:23], s[0:1], v41, s22, v[22:23]
	v_mad_u64_u32 v[26:27], s[0:1], v43, s22, v[26:27]
	;; [unrolled: 1-line block ×3, first 2 shown]
	global_store_dword v[32:33], v20, off
	global_store_dword v[34:35], v22, off
	;; [unrolled: 1-line block ×4, first 2 shown]
	s_andn2_b64 exec, exec, s[30:31]
	s_cbranch_execnz .LBB3_15
; %bb.16:
	s_or_b64 exec, exec, s[30:31]
	v_lshlrev_b32_e32 v15, 6, v1
.LBB3_17:
	s_or_b64 exec, exec, s[18:19]
	v_and_b32_e32 v1, 2, v14
	v_cmp_eq_u32_e64 s[0:1], 0, v1
	s_and_saveexec_b64 s[2:3], s[0:1]
	s_cbranch_execz .LBB3_19
; %bb.18:
	s_abs_i32 s7, s20
	v_cvt_f32_u32_e32 v16, s7
	v_add_u32_e32 v1, v0, v15
	v_lshl_add_u32 v1, v1, 2, 0
	ds_read2st64_b32 v[14:15], v1 offset1:1
	v_rcp_iflag_f32_e32 v1, v16
	s_sub_i32 s0, 0, s7
	v_add_u32_e32 v2, v2, v6
	v_add_u32_e32 v18, v3, v6
	v_mul_f32_e32 v1, 0x4f7ffffe, v1
	v_cvt_u32_f32_e32 v1, v1
	s_waitcnt lgkmcnt(0)
	v_and_b32_e32 v24, 0x3fffff, v14
	v_lshrrev_b32_e32 v27, 22, v14
	v_lshrrev_b32_e32 v26, 22, v15
	v_mul_lo_u32 v14, s0, v1
	v_mul_hi_u32 v14, v1, v14
	v_add_u32_e32 v1, v1, v14
	v_mul_hi_u32 v14, v27, v1
	v_mul_lo_u32 v14, v14, s7
	v_sub_u32_e32 v14, v27, v14
	v_and_b32_e32 v25, 0x3fffff, v15
	v_subrev_u32_e32 v15, s7, v14
	v_cmp_le_u32_e64 s[0:1], s7, v14
	v_mul_hi_u32 v1, v26, v1
	v_cndmask_b32_e64 v14, v14, v15, s[0:1]
	v_mul_lo_u32 v1, v1, s7
	v_subrev_u32_e32 v15, s7, v14
	v_cmp_le_u32_e64 s[0:1], s7, v14
	v_sub_u32_e32 v1, v26, v1
	v_cndmask_b32_e64 v14, v14, v15, s[0:1]
	v_subrev_u32_e32 v15, s7, v1
	v_cmp_le_u32_e64 s[0:1], s7, v1
	v_cndmask_b32_e64 v1, v1, v15, s[0:1]
	v_subrev_u32_e32 v15, s7, v1
	v_cmp_le_u32_e64 s[0:1], s7, v1
	v_cndmask_b32_e64 v16, v1, v15, s[0:1]
	v_ashrrev_i32_e32 v3, 31, v2
	v_mad_u64_u32 v[16:17], s[0:1], v25, s22, v[16:17]
	v_mad_u64_u32 v[14:15], s[0:1], v24, s22, v[14:15]
	v_lshlrev_b64 v[2:3], 2, v[2:3]
	v_ashrrev_i32_e32 v19, 31, v18
	v_mov_b32_e32 v1, s25
	v_add_co_u32_e64 v20, s[0:1], s24, v2
	v_addc_co_u32_e64 v21, s[0:1], v1, v3, s[0:1]
	v_lshlrev_b64 v[18:19], 2, v[18:19]
	v_add_co_u32_e64 v22, s[0:1], s24, v18
	v_addc_co_u32_e64 v23, s[0:1], v1, v19, s[0:1]
	v_mov_b32_e32 v15, s27
	v_add_co_u32_e64 v2, s[0:1], s26, v2
	v_addc_co_u32_e64 v3, s[0:1], v15, v3, s[0:1]
	global_store_dword v[20:21], v14, off
	global_store_dword v[22:23], v16, off
	v_lshl_add_u32 v16, v24, 3, v27
	v_add_co_u32_e64 v14, s[0:1], s26, v18
	v_lshl_add_u32 v1, v25, 3, v26
	v_addc_co_u32_e64 v15, s[0:1], v15, v19, s[0:1]
	global_store_dword v[2:3], v16, off
	global_store_dword v[14:15], v1, off
.LBB3_19:
	s_or_b64 exec, exec, s[2:3]
	v_add_u32_e32 v2, 1, v13
	v_and_b32_e32 v3, 0x7fffffe, v2
	v_cmp_ne_u32_e64 s[0:1], v2, v3
	v_lshl_add_u32 v1, v3, 6, v0
	s_orn2_b64 s[2:3], s[0:1], exec
.LBB3_20:
	s_or_b64 exec, exec, s[16:17]
	s_andn2_b64 s[0:1], vcc, exec
	s_and_b64 s[2:3], s[2:3], exec
	s_or_b64 vcc, s[0:1], s[2:3]
.LBB3_21:
	s_or_b64 exec, exec, s[14:15]
	s_and_b64 exec, exec, vcc
	s_cbranch_execz .LBB3_24
; %bb.22:
	s_abs_i32 s7, s20
	v_cvt_f32_u32_e32 v2, s7
	v_add_u32_e32 v3, v7, v9
	s_sub_i32 s0, 0, s7
	v_lshl_add_u32 v7, v1, 2, 0
	v_rcp_iflag_f32_e32 v2, v2
	s_mov_b64 s[2:3], 0
	v_mov_b32_e32 v9, s25
	v_mul_f32_e32 v2, 0x4f7ffffe, v2
	v_cvt_u32_f32_e32 v13, v2
	v_add3_u32 v2, v3, v8, v10
	v_add3_u32 v2, v2, v11, v12
	;; [unrolled: 1-line block ×3, first 2 shown]
	v_mul_lo_u32 v3, s0, v13
	v_mul_hi_u32 v3, v13, v3
	v_add_u32_e32 v5, v13, v3
	v_mov_b32_e32 v8, s27
.LBB3_23:                               ; =>This Inner Loop Header: Depth=1
	ds_read_b32 v14, v7
	v_ashrrev_i32_e32 v3, 31, v2
	v_lshlrev_b64 v[10:11], 2, v[2:3]
	v_add_co_u32_e64 v12, s[0:1], s24, v10
	v_addc_co_u32_e64 v13, s[0:1], v9, v11, s[0:1]
	s_waitcnt lgkmcnt(0)
	v_and_b32_e32 v3, 0x3fffff, v14
	v_lshrrev_b32_e32 v14, 22, v14
	v_add_co_u32_e64 v10, s[0:1], s26, v10
	v_mul_hi_u32 v15, v14, v5
	v_add_u32_e32 v1, 64, v1
	v_addc_co_u32_e64 v11, s[0:1], v8, v11, s[0:1]
	v_lshl_add_u32 v16, v3, 3, v14
	v_mul_lo_u32 v15, v15, s7
	v_cmp_ge_i32_e32 vcc, v1, v4
	global_store_dword v[10:11], v16, off
	v_sub_u32_e32 v10, v14, v15
	s_or_b64 s[2:3], vcc, s[2:3]
	v_subrev_u32_e32 v11, s7, v10
	v_cmp_le_u32_e32 vcc, s7, v10
	v_cndmask_b32_e32 v10, v10, v11, vcc
	v_subrev_u32_e32 v11, s7, v10
	v_cmp_le_u32_e32 vcc, s7, v10
	v_cndmask_b32_e32 v10, v10, v11, vcc
	v_add_u32_e32 v7, 0x100, v7
	v_add_u32_e32 v2, 64, v2
	v_mad_u64_u32 v[10:11], s[0:1], v3, s22, v[10:11]
	global_store_dword v[12:13], v10, off
	s_andn2_b64 exec, exec, s[2:3]
	s_cbranch_execnz .LBB3_23
.LBB3_24:
	s_or_b64 exec, exec, s[12:13]
	v_cmp_eq_u32_e32 vcc, 0, v0
	s_and_saveexec_b64 s[0:1], vcc
	s_cbranch_execz .LBB3_27
; %bb.25:
	s_load_dword s0, s[4:5], 0x38
	s_ashr_i32 s7, s6, 31
	s_lshl_b64 s[2:3], s[6:7], 2
	s_add_u32 s2, s28, s2
	s_addc_u32 s3, s29, s3
	s_waitcnt lgkmcnt(0)
	s_add_i32 s1, s0, -1
	v_mov_b32_e32 v0, 0
	s_cmp_lt_i32 s6, s1
	global_store_dword v0, v6, s[2:3]
	s_cbranch_scc1 .LBB3_27
; %bb.26:
	s_mov_b32 s1, 0
	s_lshl_b64 s[0:1], s[0:1], 2
	s_add_u32 s0, s28, s0
	s_addc_u32 s1, s29, s1
	v_add_u32_e32 v1, v6, v4
	global_store_dword v0, v1, s[0:1]
.LBB3_27:
	s_endpgm
	.section	.rodata,"a",@progbits
	.p2align	6, 0x0
	.amdhsa_kernel _ZL13mm_ids_helperILi8EEvPKiPiS2_S2_iiiii
		.amdhsa_group_segment_fixed_size 0
		.amdhsa_private_segment_fixed_size 0
		.amdhsa_kernarg_size 312
		.amdhsa_user_sgpr_count 6
		.amdhsa_user_sgpr_private_segment_buffer 1
		.amdhsa_user_sgpr_dispatch_ptr 0
		.amdhsa_user_sgpr_queue_ptr 0
		.amdhsa_user_sgpr_kernarg_segment_ptr 1
		.amdhsa_user_sgpr_dispatch_id 0
		.amdhsa_user_sgpr_flat_scratch_init 0
		.amdhsa_user_sgpr_kernarg_preload_length 0
		.amdhsa_user_sgpr_kernarg_preload_offset 0
		.amdhsa_user_sgpr_private_segment_size 0
		.amdhsa_uses_dynamic_stack 0
		.amdhsa_system_sgpr_private_segment_wavefront_offset 0
		.amdhsa_system_sgpr_workgroup_id_x 1
		.amdhsa_system_sgpr_workgroup_id_y 0
		.amdhsa_system_sgpr_workgroup_id_z 0
		.amdhsa_system_sgpr_workgroup_info 0
		.amdhsa_system_vgpr_workitem_id 0
		.amdhsa_next_free_vgpr 52
		.amdhsa_next_free_sgpr 34
		.amdhsa_accum_offset 52
		.amdhsa_reserve_vcc 1
		.amdhsa_reserve_flat_scratch 0
		.amdhsa_float_round_mode_32 0
		.amdhsa_float_round_mode_16_64 0
		.amdhsa_float_denorm_mode_32 3
		.amdhsa_float_denorm_mode_16_64 3
		.amdhsa_dx10_clamp 1
		.amdhsa_ieee_mode 1
		.amdhsa_fp16_overflow 0
		.amdhsa_tg_split 0
		.amdhsa_exception_fp_ieee_invalid_op 0
		.amdhsa_exception_fp_denorm_src 0
		.amdhsa_exception_fp_ieee_div_zero 0
		.amdhsa_exception_fp_ieee_overflow 0
		.amdhsa_exception_fp_ieee_underflow 0
		.amdhsa_exception_fp_ieee_inexact 0
		.amdhsa_exception_int_div_zero 0
	.end_amdhsa_kernel
	.section	.text._ZL13mm_ids_helperILi8EEvPKiPiS2_S2_iiiii,"axG",@progbits,_ZL13mm_ids_helperILi8EEvPKiPiS2_S2_iiiii,comdat
.Lfunc_end3:
	.size	_ZL13mm_ids_helperILi8EEvPKiPiS2_S2_iiiii, .Lfunc_end3-_ZL13mm_ids_helperILi8EEvPKiPiS2_S2_iiiii
                                        ; -- End function
	.section	.AMDGPU.csdata,"",@progbits
; Kernel info:
; codeLenInByte = 2868
; NumSgprs: 38
; NumVgprs: 52
; NumAgprs: 0
; TotalNumVgprs: 52
; ScratchSize: 0
; MemoryBound: 0
; FloatMode: 240
; IeeeMode: 1
; LDSByteSize: 0 bytes/workgroup (compile time only)
; SGPRBlocks: 4
; VGPRBlocks: 6
; NumSGPRsForWavesPerEU: 38
; NumVGPRsForWavesPerEU: 52
; AccumOffset: 52
; Occupancy: 8
; WaveLimiterHint : 0
; COMPUTE_PGM_RSRC2:SCRATCH_EN: 0
; COMPUTE_PGM_RSRC2:USER_SGPR: 6
; COMPUTE_PGM_RSRC2:TRAP_HANDLER: 0
; COMPUTE_PGM_RSRC2:TGID_X_EN: 1
; COMPUTE_PGM_RSRC2:TGID_Y_EN: 0
; COMPUTE_PGM_RSRC2:TGID_Z_EN: 0
; COMPUTE_PGM_RSRC2:TIDIG_COMP_CNT: 0
; COMPUTE_PGM_RSRC3_GFX90A:ACCUM_OFFSET: 12
; COMPUTE_PGM_RSRC3_GFX90A:TG_SPLIT: 0
	.section	.text._ZL13mm_ids_helperILi16EEvPKiPiS2_S2_iiiii,"axG",@progbits,_ZL13mm_ids_helperILi16EEvPKiPiS2_S2_iiiii,comdat
	.globl	_ZL13mm_ids_helperILi16EEvPKiPiS2_S2_iiiii ; -- Begin function _ZL13mm_ids_helperILi16EEvPKiPiS2_S2_iiiii
	.p2align	8
	.type	_ZL13mm_ids_helperILi16EEvPKiPiS2_S2_iiiii,@function
_ZL13mm_ids_helperILi16EEvPKiPiS2_S2_iiiii: ; @_ZL13mm_ids_helperILi16EEvPKiPiS2_S2_iiiii
; %bb.0:
	s_load_dword s7, s[4:5], 0x20
	s_load_dwordx4 s[12:15], s[4:5], 0x28
	s_mov_b32 s2, 0
	v_mbcnt_lo_u32_b32 v2, -1, 0
	s_waitcnt lgkmcnt(0)
	s_cmp_gt_i32 s7, 0
	s_cbranch_scc1 .LBB4_2
; %bb.1:
	v_mbcnt_hi_u32_b32 v1, -1, v2
	v_and_b32_e32 v7, 64, v1
	v_xor_b32_e32 v6, 8, v1
	v_xor_b32_e32 v10, 4, v1
	v_xor_b32_e32 v11, 2, v1
	v_xor_b32_e32 v12, 1, v1
	s_mov_b64 s[0:1], 0
	s_branch .LBB4_3
.LBB4_2:
	s_mov_b64 s[0:1], -1
                                        ; implicit-def: $sgpr2
                                        ; implicit-def: $vgpr1
                                        ; implicit-def: $vgpr7
                                        ; implicit-def: $vgpr6
                                        ; implicit-def: $vgpr10
                                        ; implicit-def: $vgpr11
                                        ; implicit-def: $vgpr12
.LBB4_3:
	s_load_dwordx4 s[16:19], s[4:5], 0x8
	s_load_dwordx2 s[20:21], s[4:5], 0x18
	s_andn2_b64 vcc, exec, s[0:1]
	v_mov_b32_e32 v5, s2
	v_mov_b32_e32 v4, s2
	s_cbranch_vccnz .LBB4_10
; %bb.4:
	v_mbcnt_hi_u32_b32 v1, -1, v2
	v_and_b32_e32 v2, 0x70, v1
	v_add_u32_e32 v2, 16, v2
	v_xor_b32_e32 v6, 8, v1
	v_cmp_lt_i32_e32 vcc, v6, v2
	v_xor_b32_e32 v10, 4, v1
	v_cndmask_b32_e32 v3, v1, v6, vcc
	v_cmp_lt_i32_e32 vcc, v10, v2
	v_xor_b32_e32 v11, 2, v1
	v_lshlrev_b32_e32 v13, 2, v3
	v_cndmask_b32_e32 v3, v1, v10, vcc
	v_cmp_lt_i32_e32 vcc, v11, v2
	v_xor_b32_e32 v12, 1, v1
	v_lshlrev_b32_e32 v14, 2, v3
	v_cndmask_b32_e32 v3, v1, v11, vcc
	v_cmp_lt_i32_e32 vcc, v12, v2
	v_cndmask_b32_e32 v2, v1, v12, vcc
	v_lshlrev_b32_e32 v16, 2, v2
	v_bfrev_b32_e32 v2, 0.5
	v_and_b32_e32 v7, 64, v1
	v_lshl_or_b32 v17, v1, 2, v2
	v_add_u32_e32 v2, -16, v1
	v_cmp_lt_i32_e32 vcc, v2, v7
	v_cndmask_b32_e32 v2, v2, v1, vcc
	v_lshlrev_b32_e32 v18, 2, v2
	v_subrev_u32_e32 v2, 32, v1
	v_cmp_lt_i32_e64 s[0:1], v2, v7
	s_load_dwordx2 s[22:23], s[4:5], 0x0
	v_cndmask_b32_e64 v2, v2, v1, s[0:1]
	v_lshlrev_b32_e32 v19, 2, v2
	v_subrev_u32_e32 v2, 48, v1
	v_cmp_lt_i32_e64 s[2:3], v2, v7
	v_lshrrev_b32_e32 v8, 4, v0
	v_and_b32_e32 v4, 15, v0
	v_mov_b32_e32 v5, 0
	v_cndmask_b32_e64 v2, v2, v1, s[2:3]
	v_lshlrev_b32_e32 v9, 22, v4
	s_mov_b32 s15, 0
	v_lshlrev_b32_e32 v15, 2, v3
	v_cmp_gt_u32_e32 vcc, 16, v0
	v_cmp_gt_u32_e64 s[0:1], 32, v0
	v_lshlrev_b32_e32 v20, 2, v2
	v_cmp_gt_u32_e64 s[2:3], 48, v0
	v_mad_u64_u32 v[2:3], s[8:9], s13, v8, v[4:5]
	s_lshl_b32 s13, s13, 2
	s_mov_b32 s24, 0x3fffff
	v_mov_b32_e32 v4, 0
	s_branch .LBB4_6
.LBB4_5:                                ;   in Loop: Header=BB4_6 Depth=1
	s_or_b64 exec, exec, s[10:11]
	v_add_u32_e32 v21, v23, v22
	ds_bpermute_b32 v21, v17, v21
	v_cmp_gt_i32_e64 s[8:9], s6, v3
	s_add_i32 s15, s15, 4
	v_addc_co_u32_e64 v5, s[8:9], 0, v5, s[8:9]
	s_waitcnt lgkmcnt(0)
	v_add_u32_e32 v4, v21, v4
	s_cmp_ge_i32 s15, s7
	v_add_u32_e32 v2, s13, v2
	s_cbranch_scc1 .LBB4_10
.LBB4_6:                                ; =>This Inner Loop Header: Depth=1
	v_add_u32_e32 v21, s15, v8
	v_cmp_gt_i32_e64 s[8:9], s7, v21
	v_bfrev_b32_e32 v3, -2
	s_and_saveexec_b64 s[10:11], s[8:9]
	s_cbranch_execz .LBB4_8
; %bb.7:                                ;   in Loop: Header=BB4_6 Depth=1
	v_ashrrev_i32_e32 v3, 31, v2
	v_lshlrev_b64 v[22:23], 2, v[2:3]
	s_waitcnt lgkmcnt(0)
	v_mov_b32_e32 v3, s23
	v_add_co_u32_e64 v22, s[8:9], s22, v22
	v_addc_co_u32_e64 v23, s[8:9], v3, v23, s[8:9]
	global_load_dword v3, v[22:23], off
.LBB4_8:                                ;   in Loop: Header=BB4_6 Depth=1
	s_or_b64 exec, exec, s[10:11]
	s_waitcnt vmcnt(0)
	v_cmp_eq_u32_e64 s[8:9], s6, v3
	v_cndmask_b32_e64 v22, 0, 1, s[8:9]
	ds_bpermute_b32 v23, v13, v22
	s_waitcnt lgkmcnt(0)
	v_or_b32_e32 v22, v23, v22
	v_cmp_ne_u32_e64 s[10:11], 0, v22
	v_cndmask_b32_e64 v23, 0, 1, s[10:11]
	ds_bpermute_b32 v23, v14, v23
	s_waitcnt lgkmcnt(0)
	v_or_b32_e32 v22, v23, v22
	v_cmp_ne_u32_e64 s[10:11], 0, v22
	v_cndmask_b32_e64 v23, 0, 1, s[10:11]
	ds_bpermute_b32 v23, v15, v23
	s_waitcnt lgkmcnt(0)
	v_or_b32_e32 v22, v23, v22
	v_cmp_ne_u32_e64 s[10:11], 0, v22
	v_cndmask_b32_e64 v23, 0, 1, s[10:11]
	ds_bpermute_b32 v23, v16, v23
	s_waitcnt lgkmcnt(0)
	v_or_b32_e32 v22, v23, v22
	v_cmp_ne_u32_e64 s[10:11], 0, v22
	v_cndmask_b32_e64 v22, 0, 1, s[10:11]
	ds_bpermute_b32 v23, v18, v22
	ds_bpermute_b32 v24, v19, v22
	;; [unrolled: 1-line block ×3, first 2 shown]
	s_waitcnt lgkmcnt(2)
	v_cndmask_b32_e64 v23, v23, 0, vcc
	s_waitcnt lgkmcnt(1)
	v_cndmask_b32_e64 v24, v24, 0, s[0:1]
	s_waitcnt lgkmcnt(0)
	v_cndmask_b32_e64 v25, v25, 0, s[2:3]
	v_add3_u32 v23, v24, v23, v25
	s_and_saveexec_b64 s[10:11], s[8:9]
	s_cbranch_execz .LBB4_5
; %bb.9:                                ;   in Loop: Header=BB4_6 Depth=1
	v_lshlrev_b32_e32 v24, 2, v4
	v_lshlrev_b32_e32 v25, 2, v23
	v_add3_u32 v24, 0, v24, v25
	v_and_or_b32 v21, v21, s24, v9
	ds_write_b32 v24, v21
	s_branch .LBB4_5
.LBB4_10:
	v_add_u32_e32 v2, 64, v7
	v_xor_b32_e32 v3, 32, v1
	v_cmp_lt_i32_e32 vcc, v3, v2
	v_cndmask_b32_e32 v3, v1, v3, vcc
	v_lshlrev_b32_e32 v3, 2, v3
	ds_bpermute_b32 v7, v3, v5
	v_xor_b32_e32 v3, 16, v1
	v_cmp_lt_i32_e32 vcc, v3, v2
	v_cndmask_b32_e32 v3, v1, v3, vcc
	v_lshlrev_b32_e32 v3, 2, v3
	s_waitcnt lgkmcnt(0)
	v_add_u32_e32 v8, v7, v5
	ds_bpermute_b32 v9, v3, v8
	v_cmp_lt_i32_e32 vcc, v6, v2
	v_cndmask_b32_e32 v3, v1, v6, vcc
	v_lshlrev_b32_e32 v3, 2, v3
	v_cmp_lt_i32_e32 vcc, v10, v2
	s_waitcnt lgkmcnt(0)
	v_add_u32_e32 v6, v9, v8
	ds_bpermute_b32 v8, v3, v6
	v_cndmask_b32_e32 v3, v1, v10, vcc
	v_lshlrev_b32_e32 v3, 2, v3
	v_cmp_lt_i32_e32 vcc, v11, v2
	s_waitcnt lgkmcnt(0)
	v_add_u32_e32 v6, v8, v6
	ds_bpermute_b32 v10, v3, v6
	v_cndmask_b32_e32 v3, v1, v11, vcc
	v_lshlrev_b32_e32 v3, 2, v3
	v_cmp_lt_i32_e32 vcc, v12, v2
	v_cndmask_b32_e32 v1, v1, v12, vcc
	s_waitcnt lgkmcnt(0)
	v_add_u32_e32 v6, v10, v6
	ds_bpermute_b32 v11, v3, v6
	v_lshlrev_b32_e32 v1, 2, v1
	v_cmp_lt_i32_e32 vcc, v0, v4
	s_waitcnt lgkmcnt(0)
	v_add_u32_e32 v2, v11, v6
	ds_bpermute_b32 v12, v1, v2
	s_waitcnt lgkmcnt(0)
	v_add_u32_e32 v6, v12, v2
	s_and_saveexec_b64 s[22:23], vcc
	s_cbranch_execz .LBB4_24
; %bb.11:
	v_xad_u32 v2, v0, -1, v4
	s_movk_i32 s0, 0x2c0
	v_cmp_gt_u32_e32 vcc, s0, v2
	s_movk_i32 s0, 0x2bf
	v_cmp_lt_u32_e64 s[0:1], s0, v2
	v_mov_b32_e32 v1, v0
	s_and_saveexec_b64 s[24:25], s[0:1]
	s_cbranch_execz .LBB4_21
; %bb.12:
	v_and_b32_e32 v1, 0xffffffc0, v2
	v_add_u32_e32 v3, v6, v0
	v_add_u32_e32 v1, v3, v1
	v_cmp_ge_i32_e64 s[0:1], v1, v3
	s_mov_b64 s[2:3], -1
	v_mov_b32_e32 v1, v0
	s_and_saveexec_b64 s[26:27], s[0:1]
	s_cbranch_execz .LBB4_20
; %bb.13:
	v_lshrrev_b32_e32 v13, 6, v2
	v_add_u32_e32 v1, 64, v0
	v_add_u32_e32 v14, -1, v13
	v_cmp_lt_u32_e64 s[0:1], 1, v14
	v_mov_b32_e32 v15, 0
	v_pk_mov_b32 v[2:3], v[0:1], v[0:1] op_sel:[0,1]
	s_and_saveexec_b64 s[28:29], s[0:1]
	s_cbranch_execz .LBB4_17
; %bb.14:
	s_abs_i32 s7, s12
	v_cvt_f32_u32_e32 v2, s7
	v_lshrrev_b32_e32 v3, 1, v14
	v_add_u32_e32 v3, 1, v3
	s_sub_i32 s0, 0, s7
	v_rcp_iflag_f32_e32 v2, v2
	v_and_b32_e32 v18, -2, v3
	s_mov_b32 s13, 0
	v_lshl_add_u32 v15, v0, 2, 0
	v_mul_f32_e32 v2, 0x4f7ffffe, v2
	v_cvt_u32_f32_e32 v2, v2
	s_mov_b64 s[30:31], 0
	v_mov_b32_e32 v16, s17
	v_mov_b32_e32 v17, s19
	v_mul_lo_u32 v3, s0, v2
	v_mul_hi_u32 v3, v2, v3
	v_add_u32_e32 v19, v2, v3
	v_pk_mov_b32 v[2:3], v[0:1], v[0:1] op_sel:[0,1]
.LBB4_15:                               ; =>This Inner Loop Header: Depth=1
	v_add_u32_e32 v20, v2, v6
	v_add_u32_e32 v18, -2, v18
	v_ashrrev_i32_e32 v21, 31, v20
	v_add_u32_e32 v22, v3, v6
	s_add_i32 s13, s13, 4
	v_add_u32_e32 v28, 0x80, v20
	v_cmp_eq_u32_e64 s[0:1], 0, v18
	v_lshlrev_b64 v[20:21], 2, v[20:21]
	v_ashrrev_i32_e32 v23, 31, v22
	s_or_b64 s[30:31], s[0:1], s[30:31]
	v_add_co_u32_e64 v32, s[0:1], s16, v20
	v_add_u32_e32 v30, 0x80, v22
	v_lshlrev_b64 v[22:23], 2, v[22:23]
	v_addc_co_u32_e64 v33, s[0:1], v16, v21, s[0:1]
	v_add_co_u32_e64 v34, s[0:1], s16, v22
	v_addc_co_u32_e64 v35, s[0:1], v16, v23, s[0:1]
	v_add_co_u32_e64 v20, s[0:1], s18, v20
	v_addc_co_u32_e64 v21, s[0:1], v17, v21, s[0:1]
	v_ashrrev_i32_e32 v29, 31, v28
	v_add_co_u32_e64 v22, s[0:1], s18, v22
	ds_read2st64_b32 v[24:25], v15 offset1:1
	ds_read2st64_b32 v[26:27], v15 offset0:2 offset1:3
	v_addc_co_u32_e64 v23, s[0:1], v17, v23, s[0:1]
	v_lshlrev_b64 v[28:29], 2, v[28:29]
	v_ashrrev_i32_e32 v31, 31, v30
	v_add_co_u32_e64 v36, s[0:1], s16, v28
	v_lshlrev_b64 v[30:31], 2, v[30:31]
	v_addc_co_u32_e64 v37, s[0:1], v16, v29, s[0:1]
	v_add_co_u32_e64 v38, s[0:1], s16, v30
	v_addc_co_u32_e64 v39, s[0:1], v16, v31, s[0:1]
	s_waitcnt lgkmcnt(1)
	v_and_b32_e32 v40, 0x3fffff, v24
	v_lshrrev_b32_e32 v24, 22, v24
	v_add_co_u32_e64 v28, s[0:1], s18, v28
	v_and_b32_e32 v41, 0x3fffff, v25
	v_lshrrev_b32_e32 v25, 22, v25
	s_waitcnt lgkmcnt(0)
	v_and_b32_e32 v42, 0x3fffff, v26
	v_and_b32_e32 v43, 0x3fffff, v27
	v_lshrrev_b32_e32 v27, 22, v27
	v_lshrrev_b32_e32 v26, 22, v26
	v_mul_hi_u32 v44, v24, v19
	v_addc_co_u32_e64 v29, s[0:1], v17, v29, s[0:1]
	v_mul_hi_u32 v45, v25, v19
	v_lshl_add_u32 v47, v40, 4, v24
	v_mul_hi_u32 v48, v26, v19
	v_mul_hi_u32 v49, v27, v19
	v_mul_lo_u32 v44, v44, s7
	v_add_co_u32_e64 v30, s[0:1], s18, v30
	v_lshl_add_u32 v46, v41, 4, v25
	v_mul_lo_u32 v45, v45, s7
	global_store_dword v[20:21], v47, off
	global_store_dword v[22:23], v46, off
	v_mul_lo_u32 v20, v48, s7
	v_mul_lo_u32 v21, v49, s7
	v_sub_u32_e32 v22, v24, v44
	v_addc_co_u32_e64 v31, s[0:1], v17, v31, s[0:1]
	v_sub_u32_e32 v23, v25, v45
	v_sub_u32_e32 v20, v26, v20
	;; [unrolled: 1-line block ×3, first 2 shown]
	v_subrev_u32_e32 v24, s7, v22
	v_cmp_le_u32_e64 s[10:11], s7, v22
	v_lshl_add_u32 v50, v43, 4, v27
	v_lshl_add_u32 v51, v42, 4, v26
	v_subrev_u32_e32 v25, s7, v23
	v_cmp_le_u32_e64 s[0:1], s7, v23
	v_subrev_u32_e32 v26, s7, v20
	v_cmp_le_u32_e64 s[2:3], s7, v20
	;; [unrolled: 2-line block ×3, first 2 shown]
	v_cndmask_b32_e64 v22, v22, v24, s[10:11]
	v_cndmask_b32_e64 v23, v23, v25, s[0:1]
	;; [unrolled: 1-line block ×4, first 2 shown]
	v_subrev_u32_e32 v20, s7, v22
	v_cmp_le_u32_e64 s[10:11], s7, v22
	v_subrev_u32_e32 v25, s7, v23
	v_cmp_le_u32_e64 s[0:1], s7, v23
	;; [unrolled: 2-line block ×4, first 2 shown]
	v_cndmask_b32_e64 v20, v22, v20, s[10:11]
	v_add_u32_e32 v3, 0x100, v3
	v_add_u32_e32 v2, 0x100, v2
	;; [unrolled: 1-line block ×3, first 2 shown]
	v_mov_b32_e32 v1, s13
	v_cndmask_b32_e64 v22, v23, v25, s[0:1]
	v_cndmask_b32_e64 v24, v24, v26, s[2:3]
	;; [unrolled: 1-line block ×3, first 2 shown]
	v_mad_u64_u32 v[20:21], s[0:1], v40, s14, v[20:21]
	global_store_dword v[28:29], v51, off
	global_store_dword v[30:31], v50, off
	v_mad_u64_u32 v[22:23], s[0:1], v41, s14, v[22:23]
	v_mad_u64_u32 v[26:27], s[0:1], v43, s14, v[26:27]
	;; [unrolled: 1-line block ×3, first 2 shown]
	global_store_dword v[32:33], v20, off
	global_store_dword v[34:35], v22, off
	;; [unrolled: 1-line block ×4, first 2 shown]
	s_andn2_b64 exec, exec, s[30:31]
	s_cbranch_execnz .LBB4_15
; %bb.16:
	s_or_b64 exec, exec, s[30:31]
	v_lshlrev_b32_e32 v15, 6, v1
.LBB4_17:
	s_or_b64 exec, exec, s[28:29]
	v_and_b32_e32 v1, 2, v14
	v_cmp_eq_u32_e64 s[0:1], 0, v1
	s_and_saveexec_b64 s[2:3], s[0:1]
	s_cbranch_execz .LBB4_19
; %bb.18:
	s_abs_i32 s7, s12
	v_cvt_f32_u32_e32 v16, s7
	v_add_u32_e32 v1, v0, v15
	v_lshl_add_u32 v1, v1, 2, 0
	ds_read2st64_b32 v[14:15], v1 offset1:1
	v_rcp_iflag_f32_e32 v1, v16
	s_sub_i32 s0, 0, s7
	v_add_u32_e32 v2, v2, v6
	v_add_u32_e32 v18, v3, v6
	v_mul_f32_e32 v1, 0x4f7ffffe, v1
	v_cvt_u32_f32_e32 v1, v1
	s_waitcnt lgkmcnt(0)
	v_and_b32_e32 v24, 0x3fffff, v14
	v_lshrrev_b32_e32 v27, 22, v14
	v_lshrrev_b32_e32 v26, 22, v15
	v_mul_lo_u32 v14, s0, v1
	v_mul_hi_u32 v14, v1, v14
	v_add_u32_e32 v1, v1, v14
	v_mul_hi_u32 v14, v27, v1
	v_mul_lo_u32 v14, v14, s7
	v_sub_u32_e32 v14, v27, v14
	v_and_b32_e32 v25, 0x3fffff, v15
	v_subrev_u32_e32 v15, s7, v14
	v_cmp_le_u32_e64 s[0:1], s7, v14
	v_mul_hi_u32 v1, v26, v1
	v_cndmask_b32_e64 v14, v14, v15, s[0:1]
	v_mul_lo_u32 v1, v1, s7
	v_subrev_u32_e32 v15, s7, v14
	v_cmp_le_u32_e64 s[0:1], s7, v14
	v_sub_u32_e32 v1, v26, v1
	v_cndmask_b32_e64 v14, v14, v15, s[0:1]
	v_subrev_u32_e32 v15, s7, v1
	v_cmp_le_u32_e64 s[0:1], s7, v1
	v_cndmask_b32_e64 v1, v1, v15, s[0:1]
	v_subrev_u32_e32 v15, s7, v1
	v_cmp_le_u32_e64 s[0:1], s7, v1
	v_cndmask_b32_e64 v16, v1, v15, s[0:1]
	v_ashrrev_i32_e32 v3, 31, v2
	v_mad_u64_u32 v[16:17], s[0:1], v25, s14, v[16:17]
	v_mad_u64_u32 v[14:15], s[0:1], v24, s14, v[14:15]
	v_lshlrev_b64 v[2:3], 2, v[2:3]
	v_ashrrev_i32_e32 v19, 31, v18
	v_mov_b32_e32 v1, s17
	v_add_co_u32_e64 v20, s[0:1], s16, v2
	v_addc_co_u32_e64 v21, s[0:1], v1, v3, s[0:1]
	v_lshlrev_b64 v[18:19], 2, v[18:19]
	v_add_co_u32_e64 v22, s[0:1], s16, v18
	v_addc_co_u32_e64 v23, s[0:1], v1, v19, s[0:1]
	v_mov_b32_e32 v15, s19
	v_add_co_u32_e64 v2, s[0:1], s18, v2
	v_addc_co_u32_e64 v3, s[0:1], v15, v3, s[0:1]
	global_store_dword v[20:21], v14, off
	global_store_dword v[22:23], v16, off
	v_lshl_add_u32 v16, v24, 4, v27
	v_add_co_u32_e64 v14, s[0:1], s18, v18
	v_lshl_add_u32 v1, v25, 4, v26
	v_addc_co_u32_e64 v15, s[0:1], v15, v19, s[0:1]
	global_store_dword v[2:3], v16, off
	global_store_dword v[14:15], v1, off
.LBB4_19:
	s_or_b64 exec, exec, s[2:3]
	v_add_u32_e32 v2, 1, v13
	v_and_b32_e32 v3, 0x7fffffe, v2
	v_cmp_ne_u32_e64 s[0:1], v2, v3
	v_lshl_add_u32 v1, v3, 6, v0
	s_orn2_b64 s[2:3], s[0:1], exec
.LBB4_20:
	s_or_b64 exec, exec, s[26:27]
	s_andn2_b64 s[0:1], vcc, exec
	s_and_b64 s[2:3], s[2:3], exec
	s_or_b64 vcc, s[0:1], s[2:3]
.LBB4_21:
	s_or_b64 exec, exec, s[24:25]
	s_and_b64 exec, exec, vcc
	s_cbranch_execz .LBB4_24
; %bb.22:
	s_abs_i32 s7, s12
	v_cvt_f32_u32_e32 v2, s7
	v_add_u32_e32 v3, v7, v9
	s_sub_i32 s0, 0, s7
	v_lshl_add_u32 v7, v1, 2, 0
	v_rcp_iflag_f32_e32 v2, v2
	s_mov_b64 s[2:3], 0
	v_mov_b32_e32 v9, s17
	v_mul_f32_e32 v2, 0x4f7ffffe, v2
	v_cvt_u32_f32_e32 v13, v2
	v_add3_u32 v2, v3, v8, v10
	v_add3_u32 v2, v2, v11, v12
	;; [unrolled: 1-line block ×3, first 2 shown]
	v_mul_lo_u32 v3, s0, v13
	v_mul_hi_u32 v3, v13, v3
	v_add_u32_e32 v5, v13, v3
	v_mov_b32_e32 v8, s19
.LBB4_23:                               ; =>This Inner Loop Header: Depth=1
	ds_read_b32 v14, v7
	v_ashrrev_i32_e32 v3, 31, v2
	v_lshlrev_b64 v[10:11], 2, v[2:3]
	v_add_co_u32_e64 v12, s[0:1], s16, v10
	v_addc_co_u32_e64 v13, s[0:1], v9, v11, s[0:1]
	s_waitcnt lgkmcnt(0)
	v_and_b32_e32 v3, 0x3fffff, v14
	v_lshrrev_b32_e32 v14, 22, v14
	v_add_co_u32_e64 v10, s[0:1], s18, v10
	v_mul_hi_u32 v15, v14, v5
	v_add_u32_e32 v1, 64, v1
	v_addc_co_u32_e64 v11, s[0:1], v8, v11, s[0:1]
	v_lshl_add_u32 v16, v3, 4, v14
	v_mul_lo_u32 v15, v15, s7
	v_cmp_ge_i32_e32 vcc, v1, v4
	global_store_dword v[10:11], v16, off
	v_sub_u32_e32 v10, v14, v15
	s_or_b64 s[2:3], vcc, s[2:3]
	v_subrev_u32_e32 v11, s7, v10
	v_cmp_le_u32_e32 vcc, s7, v10
	v_cndmask_b32_e32 v10, v10, v11, vcc
	v_subrev_u32_e32 v11, s7, v10
	v_cmp_le_u32_e32 vcc, s7, v10
	v_cndmask_b32_e32 v10, v10, v11, vcc
	v_add_u32_e32 v7, 0x100, v7
	v_add_u32_e32 v2, 64, v2
	v_mad_u64_u32 v[10:11], s[0:1], v3, s14, v[10:11]
	global_store_dword v[12:13], v10, off
	s_andn2_b64 exec, exec, s[2:3]
	s_cbranch_execnz .LBB4_23
.LBB4_24:
	s_or_b64 exec, exec, s[22:23]
	v_cmp_eq_u32_e32 vcc, 0, v0
	s_and_saveexec_b64 s[0:1], vcc
	s_cbranch_execz .LBB4_27
; %bb.25:
	s_load_dword s0, s[4:5], 0x38
	s_ashr_i32 s7, s6, 31
	s_lshl_b64 s[2:3], s[6:7], 2
	s_add_u32 s2, s20, s2
	s_addc_u32 s3, s21, s3
	s_waitcnt lgkmcnt(0)
	s_add_i32 s1, s0, -1
	v_mov_b32_e32 v0, 0
	s_cmp_lt_i32 s6, s1
	global_store_dword v0, v6, s[2:3]
	s_cbranch_scc1 .LBB4_27
; %bb.26:
	s_mov_b32 s1, 0
	s_lshl_b64 s[0:1], s[0:1], 2
	s_add_u32 s0, s20, s0
	s_addc_u32 s1, s21, s1
	v_add_u32_e32 v1, v6, v4
	global_store_dword v0, v1, s[0:1]
.LBB4_27:
	s_endpgm
	.section	.rodata,"a",@progbits
	.p2align	6, 0x0
	.amdhsa_kernel _ZL13mm_ids_helperILi16EEvPKiPiS2_S2_iiiii
		.amdhsa_group_segment_fixed_size 0
		.amdhsa_private_segment_fixed_size 0
		.amdhsa_kernarg_size 312
		.amdhsa_user_sgpr_count 6
		.amdhsa_user_sgpr_private_segment_buffer 1
		.amdhsa_user_sgpr_dispatch_ptr 0
		.amdhsa_user_sgpr_queue_ptr 0
		.amdhsa_user_sgpr_kernarg_segment_ptr 1
		.amdhsa_user_sgpr_dispatch_id 0
		.amdhsa_user_sgpr_flat_scratch_init 0
		.amdhsa_user_sgpr_kernarg_preload_length 0
		.amdhsa_user_sgpr_kernarg_preload_offset 0
		.amdhsa_user_sgpr_private_segment_size 0
		.amdhsa_uses_dynamic_stack 0
		.amdhsa_system_sgpr_private_segment_wavefront_offset 0
		.amdhsa_system_sgpr_workgroup_id_x 1
		.amdhsa_system_sgpr_workgroup_id_y 0
		.amdhsa_system_sgpr_workgroup_id_z 0
		.amdhsa_system_sgpr_workgroup_info 0
		.amdhsa_system_vgpr_workitem_id 0
		.amdhsa_next_free_vgpr 52
		.amdhsa_next_free_sgpr 32
		.amdhsa_accum_offset 52
		.amdhsa_reserve_vcc 1
		.amdhsa_reserve_flat_scratch 0
		.amdhsa_float_round_mode_32 0
		.amdhsa_float_round_mode_16_64 0
		.amdhsa_float_denorm_mode_32 3
		.amdhsa_float_denorm_mode_16_64 3
		.amdhsa_dx10_clamp 1
		.amdhsa_ieee_mode 1
		.amdhsa_fp16_overflow 0
		.amdhsa_tg_split 0
		.amdhsa_exception_fp_ieee_invalid_op 0
		.amdhsa_exception_fp_denorm_src 0
		.amdhsa_exception_fp_ieee_div_zero 0
		.amdhsa_exception_fp_ieee_overflow 0
		.amdhsa_exception_fp_ieee_underflow 0
		.amdhsa_exception_fp_ieee_inexact 0
		.amdhsa_exception_int_div_zero 0
	.end_amdhsa_kernel
	.section	.text._ZL13mm_ids_helperILi16EEvPKiPiS2_S2_iiiii,"axG",@progbits,_ZL13mm_ids_helperILi16EEvPKiPiS2_S2_iiiii,comdat
.Lfunc_end4:
	.size	_ZL13mm_ids_helperILi16EEvPKiPiS2_S2_iiiii, .Lfunc_end4-_ZL13mm_ids_helperILi16EEvPKiPiS2_S2_iiiii
                                        ; -- End function
	.section	.AMDGPU.csdata,"",@progbits
; Kernel info:
; codeLenInByte = 2692
; NumSgprs: 36
; NumVgprs: 52
; NumAgprs: 0
; TotalNumVgprs: 52
; ScratchSize: 0
; MemoryBound: 0
; FloatMode: 240
; IeeeMode: 1
; LDSByteSize: 0 bytes/workgroup (compile time only)
; SGPRBlocks: 4
; VGPRBlocks: 6
; NumSGPRsForWavesPerEU: 36
; NumVGPRsForWavesPerEU: 52
; AccumOffset: 52
; Occupancy: 8
; WaveLimiterHint : 0
; COMPUTE_PGM_RSRC2:SCRATCH_EN: 0
; COMPUTE_PGM_RSRC2:USER_SGPR: 6
; COMPUTE_PGM_RSRC2:TRAP_HANDLER: 0
; COMPUTE_PGM_RSRC2:TGID_X_EN: 1
; COMPUTE_PGM_RSRC2:TGID_Y_EN: 0
; COMPUTE_PGM_RSRC2:TGID_Z_EN: 0
; COMPUTE_PGM_RSRC2:TIDIG_COMP_CNT: 0
; COMPUTE_PGM_RSRC3_GFX90A:ACCUM_OFFSET: 12
; COMPUTE_PGM_RSRC3_GFX90A:TG_SPLIT: 0
	.section	.text._ZL13mm_ids_helperILi32EEvPKiPiS2_S2_iiiii,"axG",@progbits,_ZL13mm_ids_helperILi32EEvPKiPiS2_S2_iiiii,comdat
	.globl	_ZL13mm_ids_helperILi32EEvPKiPiS2_S2_iiiii ; -- Begin function _ZL13mm_ids_helperILi32EEvPKiPiS2_S2_iiiii
	.p2align	8
	.type	_ZL13mm_ids_helperILi32EEvPKiPiS2_S2_iiiii,@function
_ZL13mm_ids_helperILi32EEvPKiPiS2_S2_iiiii: ; @_ZL13mm_ids_helperILi32EEvPKiPiS2_S2_iiiii
; %bb.0:
	s_load_dword s7, s[4:5], 0x20
	s_load_dwordx4 s[12:15], s[4:5], 0x28
	s_mov_b32 s2, 0
	v_mbcnt_lo_u32_b32 v2, -1, 0
	s_waitcnt lgkmcnt(0)
	s_cmp_gt_i32 s7, 0
	s_cbranch_scc1 .LBB5_2
; %bb.1:
	v_mbcnt_hi_u32_b32 v1, -1, v2
	v_and_b32_e32 v7, 64, v1
	v_xor_b32_e32 v6, 16, v1
	v_xor_b32_e32 v8, 8, v1
	;; [unrolled: 1-line block ×5, first 2 shown]
	s_mov_b64 s[0:1], 0
	s_branch .LBB5_3
.LBB5_2:
	s_mov_b64 s[0:1], -1
                                        ; implicit-def: $sgpr2
                                        ; implicit-def: $vgpr1
                                        ; implicit-def: $vgpr7
                                        ; implicit-def: $vgpr6
                                        ; implicit-def: $vgpr8
                                        ; implicit-def: $vgpr10
                                        ; implicit-def: $vgpr11
                                        ; implicit-def: $vgpr12
.LBB5_3:
	s_load_dwordx4 s[16:19], s[4:5], 0x8
	s_load_dwordx2 s[20:21], s[4:5], 0x18
	s_andn2_b64 vcc, exec, s[0:1]
	v_mov_b32_e32 v5, s2
	v_mov_b32_e32 v4, s2
	s_cbranch_vccnz .LBB5_10
; %bb.4:
	v_mbcnt_hi_u32_b32 v1, -1, v2
	v_and_b32_e32 v2, 0x60, v1
	v_add_u32_e32 v2, 32, v2
	v_xor_b32_e32 v6, 16, v1
	v_cmp_lt_i32_e32 vcc, v6, v2
	v_xor_b32_e32 v8, 8, v1
	v_cndmask_b32_e32 v3, v1, v6, vcc
	v_cmp_lt_i32_e32 vcc, v8, v2
	v_xor_b32_e32 v10, 4, v1
	v_lshlrev_b32_e32 v14, 2, v3
	v_cndmask_b32_e32 v3, v1, v8, vcc
	v_cmp_lt_i32_e32 vcc, v10, v2
	v_xor_b32_e32 v11, 2, v1
	v_lshlrev_b32_e32 v15, 2, v3
	;; [unrolled: 4-line block ×3, first 2 shown]
	v_cndmask_b32_e32 v3, v1, v11, vcc
	v_cmp_lt_i32_e32 vcc, v12, v2
	v_cndmask_b32_e32 v2, v1, v12, vcc
	s_load_dwordx2 s[8:9], s[4:5], 0x0
	v_lshlrev_b32_e32 v18, 2, v2
	v_bfrev_b32_e32 v2, 0.5
	v_and_b32_e32 v7, 64, v1
	v_lshl_or_b32 v19, v1, 2, v2
	v_subrev_u32_e32 v2, 32, v1
	v_cmp_lt_i32_e64 s[0:1], v2, v7
	v_lshrrev_b32_e32 v9, 5, v0
	v_and_b32_e32 v4, 31, v0
	v_mov_b32_e32 v5, 0
	v_cndmask_b32_e64 v2, v2, v1, s[0:1]
	v_lshlrev_b32_e32 v13, 22, v4
	s_mov_b32 s10, 0
	v_lshlrev_b32_e32 v17, 2, v3
	v_cmp_gt_u32_e32 vcc, 32, v0
	v_lshlrev_b32_e32 v20, 2, v2
	v_mad_u64_u32 v[2:3], s[0:1], s13, v9, v[4:5]
	s_lshl_b32 s11, s13, 1
	s_mov_b32 s13, 0x3fffff
	v_mov_b32_e32 v4, 0
	s_branch .LBB5_6
.LBB5_5:                                ;   in Loop: Header=BB5_6 Depth=1
	s_or_b64 exec, exec, s[2:3]
	v_add_u32_e32 v21, v23, v22
	ds_bpermute_b32 v21, v19, v21
	v_cmp_gt_i32_e64 s[0:1], s6, v3
	s_add_i32 s10, s10, 2
	v_addc_co_u32_e64 v5, s[0:1], 0, v5, s[0:1]
	s_waitcnt lgkmcnt(0)
	v_add_u32_e32 v4, v21, v4
	s_cmp_ge_i32 s10, s7
	v_add_u32_e32 v2, s11, v2
	s_cbranch_scc1 .LBB5_10
.LBB5_6:                                ; =>This Inner Loop Header: Depth=1
	v_add_u32_e32 v21, s10, v9
	v_cmp_gt_i32_e64 s[0:1], s7, v21
	v_bfrev_b32_e32 v3, -2
	s_and_saveexec_b64 s[2:3], s[0:1]
	s_cbranch_execz .LBB5_8
; %bb.7:                                ;   in Loop: Header=BB5_6 Depth=1
	v_ashrrev_i32_e32 v3, 31, v2
	v_lshlrev_b64 v[22:23], 2, v[2:3]
	s_waitcnt lgkmcnt(0)
	v_mov_b32_e32 v3, s9
	v_add_co_u32_e64 v22, s[0:1], s8, v22
	v_addc_co_u32_e64 v23, s[0:1], v3, v23, s[0:1]
	global_load_dword v3, v[22:23], off
.LBB5_8:                                ;   in Loop: Header=BB5_6 Depth=1
	s_or_b64 exec, exec, s[2:3]
	s_waitcnt vmcnt(0)
	v_cmp_eq_u32_e64 s[0:1], s6, v3
	v_cndmask_b32_e64 v22, 0, 1, s[0:1]
	ds_bpermute_b32 v23, v14, v22
	s_waitcnt lgkmcnt(0)
	v_or_b32_e32 v22, v23, v22
	v_cmp_ne_u32_e64 s[2:3], 0, v22
	v_cndmask_b32_e64 v23, 0, 1, s[2:3]
	ds_bpermute_b32 v23, v15, v23
	s_waitcnt lgkmcnt(0)
	v_or_b32_e32 v22, v23, v22
	v_cmp_ne_u32_e64 s[2:3], 0, v22
	;; [unrolled: 5-line block ×5, first 2 shown]
	v_cndmask_b32_e64 v22, 0, 1, s[2:3]
	ds_bpermute_b32 v23, v20, v22
	s_waitcnt lgkmcnt(0)
	v_cndmask_b32_e64 v23, v23, 0, vcc
	s_and_saveexec_b64 s[2:3], s[0:1]
	s_cbranch_execz .LBB5_5
; %bb.9:                                ;   in Loop: Header=BB5_6 Depth=1
	v_lshlrev_b32_e32 v24, 2, v4
	v_lshlrev_b32_e32 v25, 2, v23
	v_add3_u32 v24, 0, v24, v25
	v_and_or_b32 v21, v21, s13, v13
	ds_write_b32 v24, v21
	s_branch .LBB5_5
.LBB5_10:
	v_add_u32_e32 v2, 64, v7
	v_xor_b32_e32 v3, 32, v1
	v_cmp_lt_i32_e32 vcc, v3, v2
	v_cndmask_b32_e32 v3, v1, v3, vcc
	v_lshlrev_b32_e32 v3, 2, v3
	ds_bpermute_b32 v7, v3, v5
	v_cmp_lt_i32_e32 vcc, v6, v2
	v_cndmask_b32_e32 v3, v1, v6, vcc
	v_lshlrev_b32_e32 v3, 2, v3
	v_cmp_lt_i32_e32 vcc, v8, v2
	s_waitcnt lgkmcnt(0)
	v_add_u32_e32 v6, v7, v5
	ds_bpermute_b32 v9, v3, v6
	v_cndmask_b32_e32 v3, v1, v8, vcc
	v_lshlrev_b32_e32 v3, 2, v3
	v_cmp_lt_i32_e32 vcc, v10, v2
	s_waitcnt lgkmcnt(0)
	v_add_u32_e32 v6, v9, v6
	ds_bpermute_b32 v8, v3, v6
	;; [unrolled: 6-line block ×3, first 2 shown]
	v_cndmask_b32_e32 v3, v1, v11, vcc
	v_lshlrev_b32_e32 v3, 2, v3
	v_cmp_lt_i32_e32 vcc, v12, v2
	v_cndmask_b32_e32 v1, v1, v12, vcc
	s_waitcnt lgkmcnt(0)
	v_add_u32_e32 v6, v10, v6
	ds_bpermute_b32 v11, v3, v6
	v_lshlrev_b32_e32 v1, 2, v1
	v_cmp_lt_i32_e32 vcc, v0, v4
	s_waitcnt lgkmcnt(0)
	v_add_u32_e32 v2, v11, v6
	ds_bpermute_b32 v12, v1, v2
	s_waitcnt lgkmcnt(0)
	v_add_u32_e32 v6, v12, v2
	s_and_saveexec_b64 s[22:23], vcc
	s_cbranch_execz .LBB5_24
; %bb.11:
	v_xad_u32 v2, v0, -1, v4
	s_movk_i32 s0, 0x2c0
	v_cmp_gt_u32_e32 vcc, s0, v2
	s_movk_i32 s0, 0x2bf
	v_cmp_lt_u32_e64 s[0:1], s0, v2
	v_mov_b32_e32 v1, v0
	s_and_saveexec_b64 s[24:25], s[0:1]
	s_cbranch_execz .LBB5_21
; %bb.12:
	v_and_b32_e32 v1, 0xffffffc0, v2
	v_add_u32_e32 v3, v6, v0
	v_add_u32_e32 v1, v3, v1
	v_cmp_ge_i32_e64 s[0:1], v1, v3
	s_mov_b64 s[2:3], -1
	v_mov_b32_e32 v1, v0
	s_and_saveexec_b64 s[26:27], s[0:1]
	s_cbranch_execz .LBB5_20
; %bb.13:
	v_lshrrev_b32_e32 v13, 6, v2
	v_add_u32_e32 v1, 64, v0
	v_add_u32_e32 v14, -1, v13
	v_cmp_lt_u32_e64 s[0:1], 1, v14
	v_mov_b32_e32 v15, 0
	v_pk_mov_b32 v[2:3], v[0:1], v[0:1] op_sel:[0,1]
	s_and_saveexec_b64 s[28:29], s[0:1]
	s_cbranch_execz .LBB5_17
; %bb.14:
	s_abs_i32 s7, s12
	v_cvt_f32_u32_e32 v2, s7
	v_lshrrev_b32_e32 v3, 1, v14
	v_add_u32_e32 v3, 1, v3
	s_sub_i32 s0, 0, s7
	v_rcp_iflag_f32_e32 v2, v2
	v_and_b32_e32 v18, -2, v3
	s_mov_b32 s13, 0
	v_lshl_add_u32 v15, v0, 2, 0
	v_mul_f32_e32 v2, 0x4f7ffffe, v2
	v_cvt_u32_f32_e32 v2, v2
	s_mov_b64 s[30:31], 0
	v_mov_b32_e32 v16, s17
	v_mov_b32_e32 v17, s19
	v_mul_lo_u32 v3, s0, v2
	v_mul_hi_u32 v3, v2, v3
	v_add_u32_e32 v19, v2, v3
	v_pk_mov_b32 v[2:3], v[0:1], v[0:1] op_sel:[0,1]
.LBB5_15:                               ; =>This Inner Loop Header: Depth=1
	v_add_u32_e32 v20, v2, v6
	v_add_u32_e32 v18, -2, v18
	v_ashrrev_i32_e32 v21, 31, v20
	v_add_u32_e32 v22, v3, v6
	s_add_i32 s13, s13, 4
	v_add_u32_e32 v28, 0x80, v20
	v_cmp_eq_u32_e64 s[0:1], 0, v18
	v_lshlrev_b64 v[20:21], 2, v[20:21]
	v_ashrrev_i32_e32 v23, 31, v22
	s_or_b64 s[30:31], s[0:1], s[30:31]
	v_add_co_u32_e64 v32, s[0:1], s16, v20
	v_add_u32_e32 v30, 0x80, v22
	v_lshlrev_b64 v[22:23], 2, v[22:23]
	v_addc_co_u32_e64 v33, s[0:1], v16, v21, s[0:1]
	v_add_co_u32_e64 v34, s[0:1], s16, v22
	v_addc_co_u32_e64 v35, s[0:1], v16, v23, s[0:1]
	v_add_co_u32_e64 v20, s[0:1], s18, v20
	v_addc_co_u32_e64 v21, s[0:1], v17, v21, s[0:1]
	v_ashrrev_i32_e32 v29, 31, v28
	v_add_co_u32_e64 v22, s[0:1], s18, v22
	ds_read2st64_b32 v[24:25], v15 offset1:1
	ds_read2st64_b32 v[26:27], v15 offset0:2 offset1:3
	v_addc_co_u32_e64 v23, s[0:1], v17, v23, s[0:1]
	v_lshlrev_b64 v[28:29], 2, v[28:29]
	v_ashrrev_i32_e32 v31, 31, v30
	v_add_co_u32_e64 v36, s[0:1], s16, v28
	v_lshlrev_b64 v[30:31], 2, v[30:31]
	v_addc_co_u32_e64 v37, s[0:1], v16, v29, s[0:1]
	v_add_co_u32_e64 v38, s[0:1], s16, v30
	v_addc_co_u32_e64 v39, s[0:1], v16, v31, s[0:1]
	s_waitcnt lgkmcnt(1)
	v_and_b32_e32 v40, 0x3fffff, v24
	v_lshrrev_b32_e32 v24, 22, v24
	v_add_co_u32_e64 v28, s[0:1], s18, v28
	v_and_b32_e32 v41, 0x3fffff, v25
	v_lshrrev_b32_e32 v25, 22, v25
	s_waitcnt lgkmcnt(0)
	v_and_b32_e32 v42, 0x3fffff, v26
	v_and_b32_e32 v43, 0x3fffff, v27
	v_lshrrev_b32_e32 v27, 22, v27
	v_lshrrev_b32_e32 v26, 22, v26
	v_mul_hi_u32 v44, v24, v19
	v_addc_co_u32_e64 v29, s[0:1], v17, v29, s[0:1]
	v_mul_hi_u32 v45, v25, v19
	v_lshl_add_u32 v47, v40, 5, v24
	v_mul_hi_u32 v48, v26, v19
	v_mul_hi_u32 v49, v27, v19
	v_mul_lo_u32 v44, v44, s7
	v_add_co_u32_e64 v30, s[0:1], s18, v30
	v_lshl_add_u32 v46, v41, 5, v25
	v_mul_lo_u32 v45, v45, s7
	global_store_dword v[20:21], v47, off
	global_store_dword v[22:23], v46, off
	v_mul_lo_u32 v20, v48, s7
	v_mul_lo_u32 v21, v49, s7
	v_sub_u32_e32 v22, v24, v44
	v_addc_co_u32_e64 v31, s[0:1], v17, v31, s[0:1]
	v_sub_u32_e32 v23, v25, v45
	v_sub_u32_e32 v20, v26, v20
	;; [unrolled: 1-line block ×3, first 2 shown]
	v_subrev_u32_e32 v24, s7, v22
	v_cmp_le_u32_e64 s[10:11], s7, v22
	v_lshl_add_u32 v50, v43, 5, v27
	v_lshl_add_u32 v51, v42, 5, v26
	v_subrev_u32_e32 v25, s7, v23
	v_cmp_le_u32_e64 s[0:1], s7, v23
	v_subrev_u32_e32 v26, s7, v20
	v_cmp_le_u32_e64 s[2:3], s7, v20
	;; [unrolled: 2-line block ×3, first 2 shown]
	v_cndmask_b32_e64 v22, v22, v24, s[10:11]
	v_cndmask_b32_e64 v23, v23, v25, s[0:1]
	;; [unrolled: 1-line block ×4, first 2 shown]
	v_subrev_u32_e32 v20, s7, v22
	v_cmp_le_u32_e64 s[10:11], s7, v22
	v_subrev_u32_e32 v25, s7, v23
	v_cmp_le_u32_e64 s[0:1], s7, v23
	;; [unrolled: 2-line block ×4, first 2 shown]
	v_cndmask_b32_e64 v20, v22, v20, s[10:11]
	v_add_u32_e32 v3, 0x100, v3
	v_add_u32_e32 v2, 0x100, v2
	;; [unrolled: 1-line block ×3, first 2 shown]
	v_mov_b32_e32 v1, s13
	v_cndmask_b32_e64 v22, v23, v25, s[0:1]
	v_cndmask_b32_e64 v24, v24, v26, s[2:3]
	;; [unrolled: 1-line block ×3, first 2 shown]
	v_mad_u64_u32 v[20:21], s[0:1], v40, s14, v[20:21]
	global_store_dword v[28:29], v51, off
	global_store_dword v[30:31], v50, off
	v_mad_u64_u32 v[22:23], s[0:1], v41, s14, v[22:23]
	v_mad_u64_u32 v[26:27], s[0:1], v43, s14, v[26:27]
	v_mad_u64_u32 v[24:25], s[0:1], v42, s14, v[24:25]
	global_store_dword v[32:33], v20, off
	global_store_dword v[34:35], v22, off
	;; [unrolled: 1-line block ×4, first 2 shown]
	s_andn2_b64 exec, exec, s[30:31]
	s_cbranch_execnz .LBB5_15
; %bb.16:
	s_or_b64 exec, exec, s[30:31]
	v_lshlrev_b32_e32 v15, 6, v1
.LBB5_17:
	s_or_b64 exec, exec, s[28:29]
	v_and_b32_e32 v1, 2, v14
	v_cmp_eq_u32_e64 s[0:1], 0, v1
	s_and_saveexec_b64 s[2:3], s[0:1]
	s_cbranch_execz .LBB5_19
; %bb.18:
	s_abs_i32 s7, s12
	v_cvt_f32_u32_e32 v16, s7
	v_add_u32_e32 v1, v0, v15
	v_lshl_add_u32 v1, v1, 2, 0
	ds_read2st64_b32 v[14:15], v1 offset1:1
	v_rcp_iflag_f32_e32 v1, v16
	s_sub_i32 s0, 0, s7
	v_add_u32_e32 v2, v2, v6
	v_add_u32_e32 v18, v3, v6
	v_mul_f32_e32 v1, 0x4f7ffffe, v1
	v_cvt_u32_f32_e32 v1, v1
	s_waitcnt lgkmcnt(0)
	v_and_b32_e32 v24, 0x3fffff, v14
	v_lshrrev_b32_e32 v27, 22, v14
	v_lshrrev_b32_e32 v26, 22, v15
	v_mul_lo_u32 v14, s0, v1
	v_mul_hi_u32 v14, v1, v14
	v_add_u32_e32 v1, v1, v14
	v_mul_hi_u32 v14, v27, v1
	v_mul_lo_u32 v14, v14, s7
	v_sub_u32_e32 v14, v27, v14
	v_and_b32_e32 v25, 0x3fffff, v15
	v_subrev_u32_e32 v15, s7, v14
	v_cmp_le_u32_e64 s[0:1], s7, v14
	v_mul_hi_u32 v1, v26, v1
	v_cndmask_b32_e64 v14, v14, v15, s[0:1]
	v_mul_lo_u32 v1, v1, s7
	v_subrev_u32_e32 v15, s7, v14
	v_cmp_le_u32_e64 s[0:1], s7, v14
	v_sub_u32_e32 v1, v26, v1
	v_cndmask_b32_e64 v14, v14, v15, s[0:1]
	v_subrev_u32_e32 v15, s7, v1
	v_cmp_le_u32_e64 s[0:1], s7, v1
	v_cndmask_b32_e64 v1, v1, v15, s[0:1]
	v_subrev_u32_e32 v15, s7, v1
	v_cmp_le_u32_e64 s[0:1], s7, v1
	v_cndmask_b32_e64 v16, v1, v15, s[0:1]
	v_ashrrev_i32_e32 v3, 31, v2
	v_mad_u64_u32 v[16:17], s[0:1], v25, s14, v[16:17]
	v_mad_u64_u32 v[14:15], s[0:1], v24, s14, v[14:15]
	v_lshlrev_b64 v[2:3], 2, v[2:3]
	v_ashrrev_i32_e32 v19, 31, v18
	v_mov_b32_e32 v1, s17
	v_add_co_u32_e64 v20, s[0:1], s16, v2
	v_addc_co_u32_e64 v21, s[0:1], v1, v3, s[0:1]
	v_lshlrev_b64 v[18:19], 2, v[18:19]
	v_add_co_u32_e64 v22, s[0:1], s16, v18
	v_addc_co_u32_e64 v23, s[0:1], v1, v19, s[0:1]
	v_mov_b32_e32 v15, s19
	v_add_co_u32_e64 v2, s[0:1], s18, v2
	v_addc_co_u32_e64 v3, s[0:1], v15, v3, s[0:1]
	global_store_dword v[20:21], v14, off
	global_store_dword v[22:23], v16, off
	v_lshl_add_u32 v16, v24, 5, v27
	v_add_co_u32_e64 v14, s[0:1], s18, v18
	v_lshl_add_u32 v1, v25, 5, v26
	v_addc_co_u32_e64 v15, s[0:1], v15, v19, s[0:1]
	global_store_dword v[2:3], v16, off
	global_store_dword v[14:15], v1, off
.LBB5_19:
	s_or_b64 exec, exec, s[2:3]
	v_add_u32_e32 v2, 1, v13
	v_and_b32_e32 v3, 0x7fffffe, v2
	v_cmp_ne_u32_e64 s[0:1], v2, v3
	v_lshl_add_u32 v1, v3, 6, v0
	s_orn2_b64 s[2:3], s[0:1], exec
.LBB5_20:
	s_or_b64 exec, exec, s[26:27]
	s_andn2_b64 s[0:1], vcc, exec
	s_and_b64 s[2:3], s[2:3], exec
	s_or_b64 vcc, s[0:1], s[2:3]
.LBB5_21:
	s_or_b64 exec, exec, s[24:25]
	s_and_b64 exec, exec, vcc
	s_cbranch_execz .LBB5_24
; %bb.22:
	s_abs_i32 s7, s12
	v_cvt_f32_u32_e32 v2, s7
	v_add_u32_e32 v3, v7, v9
	s_sub_i32 s0, 0, s7
	v_lshl_add_u32 v7, v1, 2, 0
	v_rcp_iflag_f32_e32 v2, v2
	s_mov_b64 s[2:3], 0
	v_mov_b32_e32 v9, s17
	v_mul_f32_e32 v2, 0x4f7ffffe, v2
	v_cvt_u32_f32_e32 v13, v2
	v_add3_u32 v2, v3, v8, v10
	v_add3_u32 v2, v2, v11, v12
	;; [unrolled: 1-line block ×3, first 2 shown]
	v_mul_lo_u32 v3, s0, v13
	v_mul_hi_u32 v3, v13, v3
	v_add_u32_e32 v5, v13, v3
	v_mov_b32_e32 v8, s19
.LBB5_23:                               ; =>This Inner Loop Header: Depth=1
	ds_read_b32 v14, v7
	v_ashrrev_i32_e32 v3, 31, v2
	v_lshlrev_b64 v[10:11], 2, v[2:3]
	v_add_co_u32_e64 v12, s[0:1], s16, v10
	v_addc_co_u32_e64 v13, s[0:1], v9, v11, s[0:1]
	s_waitcnt lgkmcnt(0)
	v_and_b32_e32 v3, 0x3fffff, v14
	v_lshrrev_b32_e32 v14, 22, v14
	v_add_co_u32_e64 v10, s[0:1], s18, v10
	v_mul_hi_u32 v15, v14, v5
	v_add_u32_e32 v1, 64, v1
	v_addc_co_u32_e64 v11, s[0:1], v8, v11, s[0:1]
	v_lshl_add_u32 v16, v3, 5, v14
	v_mul_lo_u32 v15, v15, s7
	v_cmp_ge_i32_e32 vcc, v1, v4
	global_store_dword v[10:11], v16, off
	v_sub_u32_e32 v10, v14, v15
	s_or_b64 s[2:3], vcc, s[2:3]
	v_subrev_u32_e32 v11, s7, v10
	v_cmp_le_u32_e32 vcc, s7, v10
	v_cndmask_b32_e32 v10, v10, v11, vcc
	v_subrev_u32_e32 v11, s7, v10
	v_cmp_le_u32_e32 vcc, s7, v10
	v_cndmask_b32_e32 v10, v10, v11, vcc
	v_add_u32_e32 v7, 0x100, v7
	v_add_u32_e32 v2, 64, v2
	v_mad_u64_u32 v[10:11], s[0:1], v3, s14, v[10:11]
	global_store_dword v[12:13], v10, off
	s_andn2_b64 exec, exec, s[2:3]
	s_cbranch_execnz .LBB5_23
.LBB5_24:
	s_or_b64 exec, exec, s[22:23]
	v_cmp_eq_u32_e32 vcc, 0, v0
	s_and_saveexec_b64 s[0:1], vcc
	s_cbranch_execz .LBB5_27
; %bb.25:
	s_load_dword s0, s[4:5], 0x38
	s_ashr_i32 s7, s6, 31
	s_lshl_b64 s[2:3], s[6:7], 2
	s_add_u32 s2, s20, s2
	s_addc_u32 s3, s21, s3
	s_waitcnt lgkmcnt(0)
	s_add_i32 s1, s0, -1
	v_mov_b32_e32 v0, 0
	s_cmp_lt_i32 s6, s1
	global_store_dword v0, v6, s[2:3]
	s_cbranch_scc1 .LBB5_27
; %bb.26:
	s_mov_b32 s1, 0
	s_lshl_b64 s[0:1], s[0:1], 2
	s_add_u32 s0, s20, s0
	s_addc_u32 s1, s21, s1
	v_add_u32_e32 v1, v6, v4
	global_store_dword v0, v1, s[0:1]
.LBB5_27:
	s_endpgm
	.section	.rodata,"a",@progbits
	.p2align	6, 0x0
	.amdhsa_kernel _ZL13mm_ids_helperILi32EEvPKiPiS2_S2_iiiii
		.amdhsa_group_segment_fixed_size 0
		.amdhsa_private_segment_fixed_size 0
		.amdhsa_kernarg_size 312
		.amdhsa_user_sgpr_count 6
		.amdhsa_user_sgpr_private_segment_buffer 1
		.amdhsa_user_sgpr_dispatch_ptr 0
		.amdhsa_user_sgpr_queue_ptr 0
		.amdhsa_user_sgpr_kernarg_segment_ptr 1
		.amdhsa_user_sgpr_dispatch_id 0
		.amdhsa_user_sgpr_flat_scratch_init 0
		.amdhsa_user_sgpr_kernarg_preload_length 0
		.amdhsa_user_sgpr_kernarg_preload_offset 0
		.amdhsa_user_sgpr_private_segment_size 0
		.amdhsa_uses_dynamic_stack 0
		.amdhsa_system_sgpr_private_segment_wavefront_offset 0
		.amdhsa_system_sgpr_workgroup_id_x 1
		.amdhsa_system_sgpr_workgroup_id_y 0
		.amdhsa_system_sgpr_workgroup_id_z 0
		.amdhsa_system_sgpr_workgroup_info 0
		.amdhsa_system_vgpr_workitem_id 0
		.amdhsa_next_free_vgpr 52
		.amdhsa_next_free_sgpr 32
		.amdhsa_accum_offset 52
		.amdhsa_reserve_vcc 1
		.amdhsa_reserve_flat_scratch 0
		.amdhsa_float_round_mode_32 0
		.amdhsa_float_round_mode_16_64 0
		.amdhsa_float_denorm_mode_32 3
		.amdhsa_float_denorm_mode_16_64 3
		.amdhsa_dx10_clamp 1
		.amdhsa_ieee_mode 1
		.amdhsa_fp16_overflow 0
		.amdhsa_tg_split 0
		.amdhsa_exception_fp_ieee_invalid_op 0
		.amdhsa_exception_fp_denorm_src 0
		.amdhsa_exception_fp_ieee_div_zero 0
		.amdhsa_exception_fp_ieee_overflow 0
		.amdhsa_exception_fp_ieee_underflow 0
		.amdhsa_exception_fp_ieee_inexact 0
		.amdhsa_exception_int_div_zero 0
	.end_amdhsa_kernel
	.section	.text._ZL13mm_ids_helperILi32EEvPKiPiS2_S2_iiiii,"axG",@progbits,_ZL13mm_ids_helperILi32EEvPKiPiS2_S2_iiiii,comdat
.Lfunc_end5:
	.size	_ZL13mm_ids_helperILi32EEvPKiPiS2_S2_iiiii, .Lfunc_end5-_ZL13mm_ids_helperILi32EEvPKiPiS2_S2_iiiii
                                        ; -- End function
	.section	.AMDGPU.csdata,"",@progbits
; Kernel info:
; codeLenInByte = 2636
; NumSgprs: 36
; NumVgprs: 52
; NumAgprs: 0
; TotalNumVgprs: 52
; ScratchSize: 0
; MemoryBound: 0
; FloatMode: 240
; IeeeMode: 1
; LDSByteSize: 0 bytes/workgroup (compile time only)
; SGPRBlocks: 4
; VGPRBlocks: 6
; NumSGPRsForWavesPerEU: 36
; NumVGPRsForWavesPerEU: 52
; AccumOffset: 52
; Occupancy: 8
; WaveLimiterHint : 0
; COMPUTE_PGM_RSRC2:SCRATCH_EN: 0
; COMPUTE_PGM_RSRC2:USER_SGPR: 6
; COMPUTE_PGM_RSRC2:TRAP_HANDLER: 0
; COMPUTE_PGM_RSRC2:TGID_X_EN: 1
; COMPUTE_PGM_RSRC2:TGID_Y_EN: 0
; COMPUTE_PGM_RSRC2:TGID_Z_EN: 0
; COMPUTE_PGM_RSRC2:TIDIG_COMP_CNT: 0
; COMPUTE_PGM_RSRC3_GFX90A:ACCUM_OFFSET: 12
; COMPUTE_PGM_RSRC3_GFX90A:TG_SPLIT: 0
	.section	.text._ZL13mm_ids_helperILi0EEvPKiPiS2_S2_iiiii,"axG",@progbits,_ZL13mm_ids_helperILi0EEvPKiPiS2_S2_iiiii,comdat
	.globl	_ZL13mm_ids_helperILi0EEvPKiPiS2_S2_iiiii ; -- Begin function _ZL13mm_ids_helperILi0EEvPKiPiS2_S2_iiiii
	.p2align	8
	.type	_ZL13mm_ids_helperILi0EEvPKiPiS2_S2_iiiii,@function
_ZL13mm_ids_helperILi0EEvPKiPiS2_S2_iiiii: ; @_ZL13mm_ids_helperILi0EEvPKiPiS2_S2_iiiii
; %bb.0:
	s_load_dwordx4 s[12:15], s[4:5], 0x20
	s_load_dwordx4 s[16:19], s[4:5], 0x8
	s_load_dwordx2 s[20:21], s[4:5], 0x18
	s_load_dword s7, s[4:5], 0x30
	s_mov_b32 s33, 0
	s_waitcnt lgkmcnt(0)
	s_cmp_lt_i32 s12, 1
	v_mov_b32_e32 v1, v0
	v_mov_b32_e32 v6, 0
	s_cbranch_scc1 .LBB6_9
; %bb.1:
	s_load_dwordx2 s[8:9], s[4:5], 0x0
	v_cmp_gt_i32_e64 s[0:1], s13, v0
	v_mov_b32_e32 v6, 0
	v_mov_b32_e32 v2, v1
	s_mov_b32 s24, 0
	s_branch .LBB6_3
.LBB6_2:                                ;   in Loop: Header=BB6_3 Depth=1
	s_or_b64 exec, exec, s[2:3]
	v_cndmask_b32_e64 v3, 0, 1, vcc
	;;#ASMSTART
	;;#ASMEND
	v_cmp_ne_u32_e32 vcc, 0, v3
	s_cmp_lg_u64 vcc, 0
	s_cselect_b64 s[2:3], -1, 0
	s_cmp_lg_u64 s[2:3], 0
	s_addc_u32 s33, s33, 0
	s_add_i32 s24, s24, 1
	s_cmp_eq_u32 s24, s12
	v_add_u32_e32 v2, s15, v2
	s_cbranch_scc1 .LBB6_9
.LBB6_3:                                ; =>This Loop Header: Depth=1
                                        ;     Child Loop BB6_5 Depth 2
	v_mov_b32_e32 v3, -1
	s_and_saveexec_b64 s[10:11], s[0:1]
	s_cbranch_execz .LBB6_7
; %bb.4:                                ;   in Loop: Header=BB6_3 Depth=1
	v_ashrrev_i32_e32 v3, 31, v2
	v_lshlrev_b64 v[4:5], 2, v[2:3]
	s_waitcnt lgkmcnt(0)
	v_mov_b32_e32 v3, s9
	v_add_co_u32_e32 v4, vcc, s8, v4
	v_addc_co_u32_e32 v5, vcc, v3, v5, vcc
	s_mov_b64 s[22:23], 0
	v_mov_b32_e32 v3, -1
	v_mov_b32_e32 v7, v1
.LBB6_5:                                ;   Parent Loop BB6_3 Depth=1
                                        ; =>  This Inner Loop Header: Depth=2
	global_load_dword v8, v[4:5], off
	v_add_co_u32_e32 v4, vcc, 0x100, v4
	v_addc_co_u32_e32 v5, vcc, 0, v5, vcc
	s_waitcnt vmcnt(0)
	v_cmp_eq_u32_e32 vcc, s6, v8
	v_cndmask_b32_e32 v3, v3, v7, vcc
	v_add_u32_e32 v7, 64, v7
	v_cmp_gt_i32_e32 vcc, s6, v8
	v_cmp_le_i32_e64 s[2:3], s13, v7
	s_or_b64 s[22:23], s[2:3], s[22:23]
	v_addc_co_u32_e32 v6, vcc, 0, v6, vcc
	s_andn2_b64 exec, exec, s[22:23]
	s_cbranch_execnz .LBB6_5
; %bb.6:                                ;   in Loop: Header=BB6_3 Depth=1
	s_or_b64 exec, exec, s[22:23]
.LBB6_7:                                ;   in Loop: Header=BB6_3 Depth=1
	s_or_b64 exec, exec, s[10:11]
	v_cmp_ne_u32_e32 vcc, -1, v3
	s_and_saveexec_b64 s[2:3], vcc
	s_cbranch_execz .LBB6_2
; %bb.8:                                ;   in Loop: Header=BB6_3 Depth=1
	s_lshl_b32 s10, s33, 2
	s_add_i32 s10, s10, 0
	s_and_b32 s11, s24, 0x3fffff
	v_lshl_or_b32 v3, v3, 22, s11
	v_mov_b32_e32 v4, s10
	ds_write_b32 v4, v3
	s_branch .LBB6_2
.LBB6_9:
	v_mbcnt_lo_u32_b32 v2, -1, 0
	v_mbcnt_hi_u32_b32 v2, -1, v2
	v_and_b32_e32 v3, 64, v2
	v_add_u32_e32 v3, 64, v3
	v_xor_b32_e32 v4, 32, v2
	v_cmp_lt_i32_e32 vcc, v4, v3
	v_cndmask_b32_e32 v4, v2, v4, vcc
	v_lshlrev_b32_e32 v4, 2, v4
	ds_bpermute_b32 v5, v4, v6
	v_xor_b32_e32 v4, 16, v2
	v_cmp_lt_i32_e32 vcc, v4, v3
	v_cndmask_b32_e32 v4, v2, v4, vcc
	v_lshlrev_b32_e32 v4, 2, v4
	s_waitcnt lgkmcnt(0)
	v_add_u32_e32 v7, v5, v6
	ds_bpermute_b32 v8, v4, v7
	v_xor_b32_e32 v4, 8, v2
	v_cmp_lt_i32_e32 vcc, v4, v3
	v_cndmask_b32_e32 v4, v2, v4, vcc
	v_lshlrev_b32_e32 v4, 2, v4
	s_waitcnt lgkmcnt(0)
	v_add_u32_e32 v9, v8, v7
	;; [unrolled: 7-line block ×5, first 2 shown]
	ds_bpermute_b32 v11, v2, v12
	v_cmp_gt_i32_e32 vcc, s33, v0
	s_waitcnt lgkmcnt(0)
	v_add_u32_e32 v4, v11, v12
	s_and_saveexec_b64 s[22:23], vcc
	s_cbranch_execz .LBB6_23
; %bb.10:
	v_xad_u32 v2, v0, -1, s33
	s_movk_i32 s0, 0x2c0
	v_cmp_gt_u32_e32 vcc, s0, v2
	s_movk_i32 s0, 0x2bf
	v_cmp_lt_u32_e64 s[0:1], s0, v2
	s_and_saveexec_b64 s[24:25], s[0:1]
	s_cbranch_execz .LBB6_20
; %bb.11:
	v_and_b32_e32 v3, 0xffffffc0, v2
	v_add_u32_e32 v12, v4, v0
	v_add_u32_e32 v3, v12, v3
	v_cmp_ge_i32_e64 s[0:1], v3, v12
	s_mov_b64 s[2:3], -1
	s_and_saveexec_b64 s[26:27], s[0:1]
	s_cbranch_execz .LBB6_19
; %bb.12:
	v_lshrrev_b32_e32 v12, 6, v2
	v_or_b32_e32 v1, 64, v0
	v_add_u32_e32 v13, -1, v12
	v_cmp_lt_u32_e64 s[0:1], 1, v13
	v_mov_b32_e32 v14, 0
	v_pk_mov_b32 v[2:3], v[0:1], v[0:1] op_sel:[0,1]
	s_and_saveexec_b64 s[28:29], s[0:1]
	s_cbranch_execz .LBB6_16
; %bb.13:
	s_abs_i32 s12, s14
	v_cvt_f32_u32_e32 v2, s12
	v_lshrrev_b32_e32 v3, 1, v13
	v_add_u32_e32 v3, 1, v3
	s_sub_i32 s0, 0, s12
	v_rcp_iflag_f32_e32 v2, v2
	v_and_b32_e32 v17, -2, v3
	s_mov_b32 s15, 0
	v_lshl_add_u32 v14, v0, 2, 0
	v_mul_f32_e32 v2, 0x4f7ffffe, v2
	v_cvt_u32_f32_e32 v2, v2
	s_mov_b64 s[30:31], 0
	v_mov_b32_e32 v15, s17
	v_mov_b32_e32 v16, s19
	v_mul_lo_u32 v3, s0, v2
	v_mul_hi_u32 v3, v2, v3
	v_add_u32_e32 v18, v2, v3
	v_pk_mov_b32 v[2:3], v[0:1], v[0:1] op_sel:[0,1]
.LBB6_14:                               ; =>This Inner Loop Header: Depth=1
	v_add_u32_e32 v20, v2, v4
	v_add_u32_e32 v17, -2, v17
	v_ashrrev_i32_e32 v21, 31, v20
	v_add_u32_e32 v22, v3, v4
	s_add_i32 s15, s15, 4
	v_add_u32_e32 v28, 0x80, v20
	v_cmp_eq_u32_e64 s[0:1], 0, v17
	v_lshlrev_b64 v[20:21], 2, v[20:21]
	v_ashrrev_i32_e32 v23, 31, v22
	s_or_b64 s[30:31], s[0:1], s[30:31]
	v_add_co_u32_e64 v32, s[0:1], s16, v20
	v_add_u32_e32 v30, 0x80, v22
	v_lshlrev_b64 v[22:23], 2, v[22:23]
	v_addc_co_u32_e64 v33, s[0:1], v15, v21, s[0:1]
	v_add_co_u32_e64 v34, s[0:1], s16, v22
	v_addc_co_u32_e64 v35, s[0:1], v15, v23, s[0:1]
	v_add_co_u32_e64 v20, s[0:1], s18, v20
	v_addc_co_u32_e64 v21, s[0:1], v16, v21, s[0:1]
	v_ashrrev_i32_e32 v29, 31, v28
	v_add_co_u32_e64 v22, s[0:1], s18, v22
	v_addc_co_u32_e64 v23, s[0:1], v16, v23, s[0:1]
	v_lshlrev_b64 v[28:29], 2, v[28:29]
	v_ashrrev_i32_e32 v31, 31, v30
	v_add_co_u32_e64 v36, s[0:1], s16, v28
	ds_read2st64_b32 v[24:25], v14 offset1:1
	ds_read2st64_b32 v[26:27], v14 offset0:2 offset1:3
	v_lshlrev_b64 v[30:31], 2, v[30:31]
	v_addc_co_u32_e64 v37, s[0:1], v15, v29, s[0:1]
	v_add_co_u32_e64 v38, s[0:1], s16, v30
	v_addc_co_u32_e64 v39, s[0:1], v15, v31, s[0:1]
	v_add_co_u32_e64 v28, s[0:1], s18, v28
	;; [unrolled: 2-line block ×3, first 2 shown]
	s_waitcnt lgkmcnt(1)
	v_and_b32_e32 v19, 0x3fffff, v24
	v_and_b32_e32 v41, 0x3fffff, v25
	v_lshrrev_b32_e32 v40, 22, v25
	v_lshrrev_b32_e32 v24, 22, v24
	s_waitcnt lgkmcnt(0)
	v_and_b32_e32 v25, 0x3fffff, v26
	v_addc_co_u32_e64 v31, s[0:1], v16, v31, s[0:1]
	v_and_b32_e32 v43, 0x3fffff, v27
	v_lshrrev_b32_e32 v42, 22, v27
	v_lshrrev_b32_e32 v26, 22, v26
	v_mul_hi_u32 v27, v24, v18
	v_mad_u64_u32 v[44:45], s[0:1], v41, s13, v[40:41]
	v_mad_u64_u32 v[46:47], s[0:1], v19, s13, v[24:25]
	v_mul_hi_u32 v52, v40, v18
	v_mul_hi_u32 v45, v26, v18
	;; [unrolled: 1-line block ×3, first 2 shown]
	v_mad_u64_u32 v[48:49], s[0:1], v43, s13, v[42:43]
	v_mad_u64_u32 v[50:51], s[0:1], v25, s13, v[26:27]
	v_mul_lo_u32 v27, v27, s12
	v_mul_lo_u32 v49, v52, s12
	global_store_dword v[20:21], v46, off
	global_store_dword v[22:23], v44, off
	v_mul_lo_u32 v20, v45, s12
	v_mul_lo_u32 v21, v47, s12
	v_sub_u32_e32 v22, v24, v27
	v_sub_u32_e32 v23, v40, v49
	;; [unrolled: 1-line block ×4, first 2 shown]
	v_subrev_u32_e32 v24, s12, v22
	v_cmp_le_u32_e64 s[10:11], s12, v22
	global_store_dword v[28:29], v50, off
	global_store_dword v[30:31], v48, off
	v_subrev_u32_e32 v26, s12, v23
	v_cmp_le_u32_e64 s[0:1], s12, v23
	v_subrev_u32_e32 v27, s12, v20
	v_cmp_le_u32_e64 s[2:3], s12, v20
	;; [unrolled: 2-line block ×3, first 2 shown]
	v_cndmask_b32_e64 v22, v22, v24, s[10:11]
	v_cndmask_b32_e64 v23, v23, v26, s[0:1]
	;; [unrolled: 1-line block ×4, first 2 shown]
	v_subrev_u32_e32 v20, s12, v22
	v_cmp_le_u32_e64 s[10:11], s12, v22
	v_subrev_u32_e32 v26, s12, v23
	v_cmp_le_u32_e64 s[0:1], s12, v23
	;; [unrolled: 2-line block ×4, first 2 shown]
	v_cndmask_b32_e64 v20, v22, v20, s[10:11]
	v_add_u32_e32 v3, 0x100, v3
	v_add_u32_e32 v2, 0x100, v2
	;; [unrolled: 1-line block ×3, first 2 shown]
	v_mov_b32_e32 v1, s15
	v_cndmask_b32_e64 v22, v23, v26, s[0:1]
	v_cndmask_b32_e64 v24, v24, v27, s[2:3]
	v_cndmask_b32_e64 v26, v21, v28, s[8:9]
	v_mad_u64_u32 v[20:21], s[0:1], v19, s7, v[20:21]
	v_mad_u64_u32 v[22:23], s[0:1], v41, s7, v[22:23]
	v_mad_u64_u32 v[26:27], s[0:1], v43, s7, v[26:27]
	v_mad_u64_u32 v[24:25], s[0:1], v25, s7, v[24:25]
	global_store_dword v[32:33], v20, off
	global_store_dword v[34:35], v22, off
	;; [unrolled: 1-line block ×4, first 2 shown]
	s_andn2_b64 exec, exec, s[30:31]
	s_cbranch_execnz .LBB6_14
; %bb.15:
	s_or_b64 exec, exec, s[30:31]
	v_lshlrev_b32_e32 v14, 6, v1
.LBB6_16:
	s_or_b64 exec, exec, s[28:29]
	v_and_b32_e32 v1, 2, v13
	v_cmp_eq_u32_e64 s[0:1], 0, v1
	s_and_saveexec_b64 s[2:3], s[0:1]
	s_cbranch_execz .LBB6_18
; %bb.17:
	s_abs_i32 s8, s14
	v_cvt_f32_u32_e32 v13, s8
	v_add_u32_e32 v1, v0, v14
	v_lshl_add_u32 v1, v1, 2, 0
	ds_read2st64_b32 v[14:15], v1 offset1:1
	v_rcp_iflag_f32_e32 v1, v13
	s_sub_i32 s0, 0, s8
	v_add_u32_e32 v2, v2, v4
	v_add_u32_e32 v22, v3, v4
	v_mul_f32_e32 v1, 0x4f7ffffe, v1
	v_cvt_u32_f32_e32 v1, v1
	s_waitcnt lgkmcnt(0)
	v_and_b32_e32 v17, 0x3fffff, v15
	v_lshrrev_b32_e32 v16, 22, v15
	v_and_b32_e32 v13, 0x3fffff, v14
	v_mul_lo_u32 v15, s0, v1
	v_mul_hi_u32 v15, v1, v15
	v_lshrrev_b32_e32 v14, 22, v14
	v_add_u32_e32 v1, v1, v15
	v_mul_hi_u32 v15, v14, v1
	v_mul_lo_u32 v15, v15, s8
	v_sub_u32_e32 v15, v14, v15
	v_subrev_u32_e32 v18, s8, v15
	v_cmp_le_u32_e64 s[0:1], s8, v15
	v_mul_hi_u32 v1, v16, v1
	v_cndmask_b32_e64 v15, v15, v18, s[0:1]
	v_mul_lo_u32 v1, v1, s8
	v_subrev_u32_e32 v18, s8, v15
	v_cmp_le_u32_e64 s[0:1], s8, v15
	v_sub_u32_e32 v1, v16, v1
	v_cndmask_b32_e64 v18, v15, v18, s[0:1]
	v_subrev_u32_e32 v15, s8, v1
	v_cmp_le_u32_e64 s[0:1], s8, v1
	v_cndmask_b32_e64 v1, v1, v15, s[0:1]
	v_subrev_u32_e32 v15, s8, v1
	v_cmp_le_u32_e64 s[0:1], s8, v1
	v_cndmask_b32_e64 v20, v1, v15, s[0:1]
	v_ashrrev_i32_e32 v3, 31, v2
	v_mad_u64_u32 v[20:21], s[0:1], v17, s7, v[20:21]
	v_mad_u64_u32 v[18:19], s[0:1], v13, s7, v[18:19]
	v_lshlrev_b64 v[2:3], 2, v[2:3]
	v_ashrrev_i32_e32 v23, 31, v22
	v_mov_b32_e32 v1, s17
	v_add_co_u32_e64 v24, s[0:1], s16, v2
	v_addc_co_u32_e64 v25, s[0:1], v1, v3, s[0:1]
	v_lshlrev_b64 v[22:23], 2, v[22:23]
	v_add_co_u32_e64 v26, s[0:1], s16, v22
	v_addc_co_u32_e64 v27, s[0:1], v1, v23, s[0:1]
	v_mad_u64_u32 v[16:17], s[0:1], v17, s13, v[16:17]
	v_mad_u64_u32 v[14:15], s[0:1], v13, s13, v[14:15]
	v_mov_b32_e32 v1, s19
	v_add_co_u32_e64 v2, s[0:1], s18, v2
	v_addc_co_u32_e64 v3, s[0:1], v1, v3, s[0:1]
	global_store_dword v[24:25], v18, off
	global_store_dword v[26:27], v20, off
	v_add_co_u32_e64 v18, s[0:1], s18, v22
	v_addc_co_u32_e64 v19, s[0:1], v1, v23, s[0:1]
	global_store_dword v[2:3], v14, off
	global_store_dword v[18:19], v16, off
.LBB6_18:
	s_or_b64 exec, exec, s[2:3]
	v_add_u32_e32 v2, 1, v12
	v_and_b32_e32 v3, 0x7fffffe, v2
	v_cmp_ne_u32_e64 s[0:1], v2, v3
	v_lshl_or_b32 v1, v3, 6, v0
	s_orn2_b64 s[2:3], s[0:1], exec
.LBB6_19:
	s_or_b64 exec, exec, s[26:27]
	s_andn2_b64 s[0:1], vcc, exec
	s_and_b64 s[2:3], s[2:3], exec
	s_or_b64 vcc, s[0:1], s[2:3]
.LBB6_20:
	s_or_b64 exec, exec, s[24:25]
	s_and_b64 exec, exec, vcc
	s_cbranch_execz .LBB6_23
; %bb.21:
	s_abs_i32 s8, s14
	v_cvt_f32_u32_e32 v2, s8
	v_add_u32_e32 v3, v5, v8
	s_sub_i32 s0, 0, s8
	v_lshl_add_u32 v5, v1, 2, 0
	v_rcp_iflag_f32_e32 v2, v2
	s_mov_b64 s[2:3], 0
	v_mov_b32_e32 v8, s17
	v_mul_f32_e32 v2, 0x4f7ffffe, v2
	v_cvt_u32_f32_e32 v12, v2
	v_add3_u32 v2, v3, v7, v9
	v_add3_u32 v2, v2, v10, v11
	;; [unrolled: 1-line block ×3, first 2 shown]
	v_mul_lo_u32 v3, s0, v12
	v_mul_hi_u32 v3, v12, v3
	v_add_u32_e32 v6, v12, v3
	v_mov_b32_e32 v7, s19
.LBB6_22:                               ; =>This Inner Loop Header: Depth=1
	ds_read_b32 v9, v5
	v_ashrrev_i32_e32 v3, 31, v2
	v_lshlrev_b64 v[10:11], 2, v[2:3]
	v_add_co_u32_e64 v12, s[0:1], s16, v10
	s_waitcnt lgkmcnt(0)
	v_lshrrev_b32_e32 v14, 22, v9
	v_addc_co_u32_e64 v13, s[0:1], v8, v11, s[0:1]
	v_and_b32_e32 v3, 0x3fffff, v9
	v_mul_hi_u32 v9, v14, v6
	v_add_u32_e32 v1, 64, v1
	v_add_co_u32_e64 v10, s[0:1], s18, v10
	v_mul_lo_u32 v9, v9, s8
	v_cmp_le_i32_e32 vcc, s33, v1
	v_addc_co_u32_e64 v11, s[0:1], v7, v11, s[0:1]
	v_mad_u64_u32 v[16:17], s[0:1], v3, s13, v[14:15]
	v_sub_u32_e32 v9, v14, v9
	s_or_b64 s[2:3], vcc, s[2:3]
	global_store_dword v[10:11], v16, off
	v_subrev_u32_e32 v10, s8, v9
	v_cmp_le_u32_e32 vcc, s8, v9
	v_cndmask_b32_e32 v9, v9, v10, vcc
	v_subrev_u32_e32 v10, s8, v9
	v_cmp_le_u32_e32 vcc, s8, v9
	v_cndmask_b32_e32 v10, v9, v10, vcc
	v_add_u32_e32 v5, 0x100, v5
	v_add_u32_e32 v2, 64, v2
	v_mad_u64_u32 v[10:11], s[0:1], v3, s7, v[10:11]
	global_store_dword v[12:13], v10, off
	s_andn2_b64 exec, exec, s[2:3]
	s_cbranch_execnz .LBB6_22
.LBB6_23:
	s_or_b64 exec, exec, s[22:23]
	v_cmp_eq_u32_e32 vcc, 0, v0
	s_and_saveexec_b64 s[0:1], vcc
	s_cbranch_execz .LBB6_26
; %bb.24:
	s_load_dword s0, s[4:5], 0x38
	s_ashr_i32 s7, s6, 31
	s_lshl_b64 s[2:3], s[6:7], 2
	s_add_u32 s2, s20, s2
	s_addc_u32 s3, s21, s3
	s_waitcnt lgkmcnt(0)
	s_add_i32 s1, s0, -1
	v_mov_b32_e32 v0, 0
	s_cmp_lt_i32 s6, s1
	global_store_dword v0, v4, s[2:3]
	s_cbranch_scc1 .LBB6_26
; %bb.25:
	s_mov_b32 s1, 0
	s_lshl_b64 s[0:1], s[0:1], 2
	s_add_u32 s0, s20, s0
	s_addc_u32 s1, s21, s1
	v_add_u32_e32 v1, s33, v4
	global_store_dword v0, v1, s[0:1]
.LBB6_26:
	s_endpgm
	.section	.rodata,"a",@progbits
	.p2align	6, 0x0
	.amdhsa_kernel _ZL13mm_ids_helperILi0EEvPKiPiS2_S2_iiiii
		.amdhsa_group_segment_fixed_size 0
		.amdhsa_private_segment_fixed_size 0
		.amdhsa_kernarg_size 312
		.amdhsa_user_sgpr_count 6
		.amdhsa_user_sgpr_private_segment_buffer 1
		.amdhsa_user_sgpr_dispatch_ptr 0
		.amdhsa_user_sgpr_queue_ptr 0
		.amdhsa_user_sgpr_kernarg_segment_ptr 1
		.amdhsa_user_sgpr_dispatch_id 0
		.amdhsa_user_sgpr_flat_scratch_init 0
		.amdhsa_user_sgpr_kernarg_preload_length 0
		.amdhsa_user_sgpr_kernarg_preload_offset 0
		.amdhsa_user_sgpr_private_segment_size 0
		.amdhsa_uses_dynamic_stack 0
		.amdhsa_system_sgpr_private_segment_wavefront_offset 0
		.amdhsa_system_sgpr_workgroup_id_x 1
		.amdhsa_system_sgpr_workgroup_id_y 0
		.amdhsa_system_sgpr_workgroup_id_z 0
		.amdhsa_system_sgpr_workgroup_info 0
		.amdhsa_system_vgpr_workitem_id 0
		.amdhsa_next_free_vgpr 53
		.amdhsa_next_free_sgpr 34
		.amdhsa_accum_offset 56
		.amdhsa_reserve_vcc 1
		.amdhsa_reserve_flat_scratch 0
		.amdhsa_float_round_mode_32 0
		.amdhsa_float_round_mode_16_64 0
		.amdhsa_float_denorm_mode_32 3
		.amdhsa_float_denorm_mode_16_64 3
		.amdhsa_dx10_clamp 1
		.amdhsa_ieee_mode 1
		.amdhsa_fp16_overflow 0
		.amdhsa_tg_split 0
		.amdhsa_exception_fp_ieee_invalid_op 0
		.amdhsa_exception_fp_denorm_src 0
		.amdhsa_exception_fp_ieee_div_zero 0
		.amdhsa_exception_fp_ieee_overflow 0
		.amdhsa_exception_fp_ieee_underflow 0
		.amdhsa_exception_fp_ieee_inexact 0
		.amdhsa_exception_int_div_zero 0
	.end_amdhsa_kernel
	.section	.text._ZL13mm_ids_helperILi0EEvPKiPiS2_S2_iiiii,"axG",@progbits,_ZL13mm_ids_helperILi0EEvPKiPiS2_S2_iiiii,comdat
.Lfunc_end6:
	.size	_ZL13mm_ids_helperILi0EEvPKiPiS2_S2_iiiii, .Lfunc_end6-_ZL13mm_ids_helperILi0EEvPKiPiS2_S2_iiiii
                                        ; -- End function
	.section	.AMDGPU.csdata,"",@progbits
; Kernel info:
; codeLenInByte = 2292
; NumSgprs: 38
; NumVgprs: 53
; NumAgprs: 0
; TotalNumVgprs: 53
; ScratchSize: 0
; MemoryBound: 0
; FloatMode: 240
; IeeeMode: 1
; LDSByteSize: 0 bytes/workgroup (compile time only)
; SGPRBlocks: 4
; VGPRBlocks: 6
; NumSGPRsForWavesPerEU: 38
; NumVGPRsForWavesPerEU: 53
; AccumOffset: 56
; Occupancy: 8
; WaveLimiterHint : 0
; COMPUTE_PGM_RSRC2:SCRATCH_EN: 0
; COMPUTE_PGM_RSRC2:USER_SGPR: 6
; COMPUTE_PGM_RSRC2:TRAP_HANDLER: 0
; COMPUTE_PGM_RSRC2:TGID_X_EN: 1
; COMPUTE_PGM_RSRC2:TGID_Y_EN: 0
; COMPUTE_PGM_RSRC2:TGID_Z_EN: 0
; COMPUTE_PGM_RSRC2:TIDIG_COMP_CNT: 0
; COMPUTE_PGM_RSRC3_GFX90A:ACCUM_OFFSET: 13
; COMPUTE_PGM_RSRC3_GFX90A:TG_SPLIT: 0
	.text
	.p2alignl 6, 3212836864
	.fill 256, 4, 3212836864
	.type	__hip_cuid_14bf9bb7d7444baf,@object ; @__hip_cuid_14bf9bb7d7444baf
	.section	.bss,"aw",@nobits
	.globl	__hip_cuid_14bf9bb7d7444baf
__hip_cuid_14bf9bb7d7444baf:
	.byte	0                               ; 0x0
	.size	__hip_cuid_14bf9bb7d7444baf, 1

	.ident	"AMD clang version 19.0.0git (https://github.com/RadeonOpenCompute/llvm-project roc-6.4.0 25133 c7fe45cf4b819c5991fe208aaa96edf142730f1d)"
	.section	".note.GNU-stack","",@progbits
	.addrsig
	.addrsig_sym __hip_cuid_14bf9bb7d7444baf
	.amdgpu_metadata
---
amdhsa.kernels:
  - .agpr_count:     0
    .args:
      - .actual_access:  read_only
        .address_space:  global
        .offset:         0
        .size:           8
        .value_kind:     global_buffer
      - .actual_access:  write_only
        .address_space:  global
        .offset:         8
        .size:           8
        .value_kind:     global_buffer
      - .actual_access:  write_only
        .address_space:  global
        .offset:         16
        .size:           8
        .value_kind:     global_buffer
      - .actual_access:  write_only
        .address_space:  global
        .offset:         24
        .size:           8
        .value_kind:     global_buffer
      - .offset:         32
        .size:           4
        .value_kind:     by_value
      - .offset:         36
        .size:           4
        .value_kind:     by_value
      - .offset:         40
        .size:           4
        .value_kind:     by_value
      - .offset:         44
        .size:           4
        .value_kind:     by_value
      - .offset:         48
        .size:           4
        .value_kind:     by_value
      - .offset:         56
        .size:           4
        .value_kind:     hidden_block_count_x
      - .offset:         60
        .size:           4
        .value_kind:     hidden_block_count_y
      - .offset:         64
        .size:           4
        .value_kind:     hidden_block_count_z
      - .offset:         68
        .size:           2
        .value_kind:     hidden_group_size_x
      - .offset:         70
        .size:           2
        .value_kind:     hidden_group_size_y
      - .offset:         72
        .size:           2
        .value_kind:     hidden_group_size_z
      - .offset:         74
        .size:           2
        .value_kind:     hidden_remainder_x
      - .offset:         76
        .size:           2
        .value_kind:     hidden_remainder_y
      - .offset:         78
        .size:           2
        .value_kind:     hidden_remainder_z
      - .offset:         96
        .size:           8
        .value_kind:     hidden_global_offset_x
      - .offset:         104
        .size:           8
        .value_kind:     hidden_global_offset_y
      - .offset:         112
        .size:           8
        .value_kind:     hidden_global_offset_z
      - .offset:         120
        .size:           2
        .value_kind:     hidden_grid_dims
      - .offset:         176
        .size:           4
        .value_kind:     hidden_dynamic_lds_size
    .group_segment_fixed_size: 0
    .kernarg_segment_align: 8
    .kernarg_segment_size: 312
    .language:       OpenCL C
    .language_version:
      - 2
      - 0
    .max_flat_workgroup_size: 64
    .name:           _ZL13mm_ids_helperILi2EEvPKiPiS2_S2_iiiii
    .private_segment_fixed_size: 0
    .sgpr_count:     86
    .sgpr_spill_count: 0
    .symbol:         _ZL13mm_ids_helperILi2EEvPKiPiS2_S2_iiiii.kd
    .uniform_work_group_size: 1
    .uses_dynamic_stack: false
    .vgpr_count:     52
    .vgpr_spill_count: 0
    .wavefront_size: 64
  - .agpr_count:     0
    .args:
      - .actual_access:  read_only
        .address_space:  global
        .offset:         0
        .size:           8
        .value_kind:     global_buffer
      - .actual_access:  write_only
        .address_space:  global
        .offset:         8
        .size:           8
        .value_kind:     global_buffer
      - .actual_access:  write_only
        .address_space:  global
        .offset:         16
        .size:           8
        .value_kind:     global_buffer
      - .actual_access:  write_only
        .address_space:  global
        .offset:         24
        .size:           8
        .value_kind:     global_buffer
      - .offset:         32
        .size:           4
        .value_kind:     by_value
      - .offset:         36
        .size:           4
        .value_kind:     by_value
      - .offset:         40
        .size:           4
        .value_kind:     by_value
      - .offset:         44
        .size:           4
        .value_kind:     by_value
      - .offset:         48
        .size:           4
        .value_kind:     by_value
      - .offset:         56
        .size:           4
        .value_kind:     hidden_block_count_x
      - .offset:         60
        .size:           4
        .value_kind:     hidden_block_count_y
      - .offset:         64
        .size:           4
        .value_kind:     hidden_block_count_z
      - .offset:         68
        .size:           2
        .value_kind:     hidden_group_size_x
      - .offset:         70
        .size:           2
        .value_kind:     hidden_group_size_y
      - .offset:         72
        .size:           2
        .value_kind:     hidden_group_size_z
      - .offset:         74
        .size:           2
        .value_kind:     hidden_remainder_x
      - .offset:         76
        .size:           2
        .value_kind:     hidden_remainder_y
      - .offset:         78
        .size:           2
        .value_kind:     hidden_remainder_z
      - .offset:         96
        .size:           8
        .value_kind:     hidden_global_offset_x
      - .offset:         104
        .size:           8
        .value_kind:     hidden_global_offset_y
      - .offset:         112
        .size:           8
        .value_kind:     hidden_global_offset_z
      - .offset:         120
        .size:           2
        .value_kind:     hidden_grid_dims
      - .offset:         176
        .size:           4
        .value_kind:     hidden_dynamic_lds_size
    .group_segment_fixed_size: 0
    .kernarg_segment_align: 8
    .kernarg_segment_size: 312
    .language:       OpenCL C
    .language_version:
      - 2
      - 0
    .max_flat_workgroup_size: 64
    .name:           _ZL13mm_ids_helperILi4EEvPKiPiS2_S2_iiiii
    .private_segment_fixed_size: 0
    .sgpr_count:     54
    .sgpr_spill_count: 0
    .symbol:         _ZL13mm_ids_helperILi4EEvPKiPiS2_S2_iiiii.kd
    .uniform_work_group_size: 1
    .uses_dynamic_stack: false
    .vgpr_count:     52
    .vgpr_spill_count: 0
    .wavefront_size: 64
  - .agpr_count:     0
    .args:
      - .actual_access:  read_only
        .address_space:  global
        .offset:         0
        .size:           8
        .value_kind:     global_buffer
      - .actual_access:  write_only
        .address_space:  global
        .offset:         8
        .size:           8
        .value_kind:     global_buffer
      - .actual_access:  write_only
        .address_space:  global
        .offset:         16
        .size:           8
        .value_kind:     global_buffer
      - .actual_access:  write_only
        .address_space:  global
        .offset:         24
        .size:           8
        .value_kind:     global_buffer
      - .offset:         32
        .size:           4
        .value_kind:     by_value
      - .offset:         36
        .size:           4
        .value_kind:     by_value
      - .offset:         40
        .size:           4
        .value_kind:     by_value
      - .offset:         44
        .size:           4
        .value_kind:     by_value
      - .offset:         48
        .size:           4
        .value_kind:     by_value
      - .offset:         56
        .size:           4
        .value_kind:     hidden_block_count_x
      - .offset:         60
        .size:           4
        .value_kind:     hidden_block_count_y
      - .offset:         64
        .size:           4
        .value_kind:     hidden_block_count_z
      - .offset:         68
        .size:           2
        .value_kind:     hidden_group_size_x
      - .offset:         70
        .size:           2
        .value_kind:     hidden_group_size_y
      - .offset:         72
        .size:           2
        .value_kind:     hidden_group_size_z
      - .offset:         74
        .size:           2
        .value_kind:     hidden_remainder_x
      - .offset:         76
        .size:           2
        .value_kind:     hidden_remainder_y
      - .offset:         78
        .size:           2
        .value_kind:     hidden_remainder_z
      - .offset:         96
        .size:           8
        .value_kind:     hidden_global_offset_x
      - .offset:         104
        .size:           8
        .value_kind:     hidden_global_offset_y
      - .offset:         112
        .size:           8
        .value_kind:     hidden_global_offset_z
      - .offset:         120
        .size:           2
        .value_kind:     hidden_grid_dims
      - .offset:         176
        .size:           4
        .value_kind:     hidden_dynamic_lds_size
    .group_segment_fixed_size: 0
    .kernarg_segment_align: 8
    .kernarg_segment_size: 312
    .language:       OpenCL C
    .language_version:
      - 2
      - 0
    .max_flat_workgroup_size: 64
    .name:           _ZL13mm_ids_helperILi6EEvPKiPiS2_S2_iiiii
    .private_segment_fixed_size: 0
    .sgpr_count:     40
    .sgpr_spill_count: 0
    .symbol:         _ZL13mm_ids_helperILi6EEvPKiPiS2_S2_iiiii.kd
    .uniform_work_group_size: 1
    .uses_dynamic_stack: false
    .vgpr_count:     52
    .vgpr_spill_count: 0
    .wavefront_size: 64
  - .agpr_count:     0
    .args:
      - .actual_access:  read_only
        .address_space:  global
        .offset:         0
        .size:           8
        .value_kind:     global_buffer
      - .actual_access:  write_only
        .address_space:  global
        .offset:         8
        .size:           8
        .value_kind:     global_buffer
      - .actual_access:  write_only
        .address_space:  global
        .offset:         16
        .size:           8
        .value_kind:     global_buffer
      - .actual_access:  write_only
        .address_space:  global
        .offset:         24
        .size:           8
        .value_kind:     global_buffer
      - .offset:         32
        .size:           4
        .value_kind:     by_value
      - .offset:         36
        .size:           4
        .value_kind:     by_value
      - .offset:         40
        .size:           4
        .value_kind:     by_value
      - .offset:         44
        .size:           4
        .value_kind:     by_value
      - .offset:         48
        .size:           4
        .value_kind:     by_value
      - .offset:         56
        .size:           4
        .value_kind:     hidden_block_count_x
      - .offset:         60
        .size:           4
        .value_kind:     hidden_block_count_y
      - .offset:         64
        .size:           4
        .value_kind:     hidden_block_count_z
      - .offset:         68
        .size:           2
        .value_kind:     hidden_group_size_x
      - .offset:         70
        .size:           2
        .value_kind:     hidden_group_size_y
      - .offset:         72
        .size:           2
        .value_kind:     hidden_group_size_z
      - .offset:         74
        .size:           2
        .value_kind:     hidden_remainder_x
      - .offset:         76
        .size:           2
        .value_kind:     hidden_remainder_y
      - .offset:         78
        .size:           2
        .value_kind:     hidden_remainder_z
      - .offset:         96
        .size:           8
        .value_kind:     hidden_global_offset_x
      - .offset:         104
        .size:           8
        .value_kind:     hidden_global_offset_y
      - .offset:         112
        .size:           8
        .value_kind:     hidden_global_offset_z
      - .offset:         120
        .size:           2
        .value_kind:     hidden_grid_dims
      - .offset:         176
        .size:           4
        .value_kind:     hidden_dynamic_lds_size
    .group_segment_fixed_size: 0
    .kernarg_segment_align: 8
    .kernarg_segment_size: 312
    .language:       OpenCL C
    .language_version:
      - 2
      - 0
    .max_flat_workgroup_size: 64
    .name:           _ZL13mm_ids_helperILi8EEvPKiPiS2_S2_iiiii
    .private_segment_fixed_size: 0
    .sgpr_count:     38
    .sgpr_spill_count: 0
    .symbol:         _ZL13mm_ids_helperILi8EEvPKiPiS2_S2_iiiii.kd
    .uniform_work_group_size: 1
    .uses_dynamic_stack: false
    .vgpr_count:     52
    .vgpr_spill_count: 0
    .wavefront_size: 64
  - .agpr_count:     0
    .args:
      - .actual_access:  read_only
        .address_space:  global
        .offset:         0
        .size:           8
        .value_kind:     global_buffer
      - .actual_access:  write_only
        .address_space:  global
        .offset:         8
        .size:           8
        .value_kind:     global_buffer
      - .actual_access:  write_only
        .address_space:  global
        .offset:         16
        .size:           8
        .value_kind:     global_buffer
      - .actual_access:  write_only
        .address_space:  global
        .offset:         24
        .size:           8
        .value_kind:     global_buffer
      - .offset:         32
        .size:           4
        .value_kind:     by_value
      - .offset:         36
        .size:           4
        .value_kind:     by_value
      - .offset:         40
        .size:           4
        .value_kind:     by_value
      - .offset:         44
        .size:           4
        .value_kind:     by_value
      - .offset:         48
        .size:           4
        .value_kind:     by_value
      - .offset:         56
        .size:           4
        .value_kind:     hidden_block_count_x
      - .offset:         60
        .size:           4
        .value_kind:     hidden_block_count_y
      - .offset:         64
        .size:           4
        .value_kind:     hidden_block_count_z
      - .offset:         68
        .size:           2
        .value_kind:     hidden_group_size_x
      - .offset:         70
        .size:           2
        .value_kind:     hidden_group_size_y
      - .offset:         72
        .size:           2
        .value_kind:     hidden_group_size_z
      - .offset:         74
        .size:           2
        .value_kind:     hidden_remainder_x
      - .offset:         76
        .size:           2
        .value_kind:     hidden_remainder_y
      - .offset:         78
        .size:           2
        .value_kind:     hidden_remainder_z
      - .offset:         96
        .size:           8
        .value_kind:     hidden_global_offset_x
      - .offset:         104
        .size:           8
        .value_kind:     hidden_global_offset_y
      - .offset:         112
        .size:           8
        .value_kind:     hidden_global_offset_z
      - .offset:         120
        .size:           2
        .value_kind:     hidden_grid_dims
      - .offset:         176
        .size:           4
        .value_kind:     hidden_dynamic_lds_size
    .group_segment_fixed_size: 0
    .kernarg_segment_align: 8
    .kernarg_segment_size: 312
    .language:       OpenCL C
    .language_version:
      - 2
      - 0
    .max_flat_workgroup_size: 64
    .name:           _ZL13mm_ids_helperILi16EEvPKiPiS2_S2_iiiii
    .private_segment_fixed_size: 0
    .sgpr_count:     36
    .sgpr_spill_count: 0
    .symbol:         _ZL13mm_ids_helperILi16EEvPKiPiS2_S2_iiiii.kd
    .uniform_work_group_size: 1
    .uses_dynamic_stack: false
    .vgpr_count:     52
    .vgpr_spill_count: 0
    .wavefront_size: 64
  - .agpr_count:     0
    .args:
      - .actual_access:  read_only
        .address_space:  global
        .offset:         0
        .size:           8
        .value_kind:     global_buffer
      - .actual_access:  write_only
        .address_space:  global
        .offset:         8
        .size:           8
        .value_kind:     global_buffer
      - .actual_access:  write_only
        .address_space:  global
        .offset:         16
        .size:           8
        .value_kind:     global_buffer
      - .actual_access:  write_only
        .address_space:  global
        .offset:         24
        .size:           8
        .value_kind:     global_buffer
      - .offset:         32
        .size:           4
        .value_kind:     by_value
      - .offset:         36
        .size:           4
        .value_kind:     by_value
      - .offset:         40
        .size:           4
        .value_kind:     by_value
      - .offset:         44
        .size:           4
        .value_kind:     by_value
      - .offset:         48
        .size:           4
        .value_kind:     by_value
      - .offset:         56
        .size:           4
        .value_kind:     hidden_block_count_x
      - .offset:         60
        .size:           4
        .value_kind:     hidden_block_count_y
      - .offset:         64
        .size:           4
        .value_kind:     hidden_block_count_z
      - .offset:         68
        .size:           2
        .value_kind:     hidden_group_size_x
      - .offset:         70
        .size:           2
        .value_kind:     hidden_group_size_y
      - .offset:         72
        .size:           2
        .value_kind:     hidden_group_size_z
      - .offset:         74
        .size:           2
        .value_kind:     hidden_remainder_x
      - .offset:         76
        .size:           2
        .value_kind:     hidden_remainder_y
      - .offset:         78
        .size:           2
        .value_kind:     hidden_remainder_z
      - .offset:         96
        .size:           8
        .value_kind:     hidden_global_offset_x
      - .offset:         104
        .size:           8
        .value_kind:     hidden_global_offset_y
      - .offset:         112
        .size:           8
        .value_kind:     hidden_global_offset_z
      - .offset:         120
        .size:           2
        .value_kind:     hidden_grid_dims
      - .offset:         176
        .size:           4
        .value_kind:     hidden_dynamic_lds_size
    .group_segment_fixed_size: 0
    .kernarg_segment_align: 8
    .kernarg_segment_size: 312
    .language:       OpenCL C
    .language_version:
      - 2
      - 0
    .max_flat_workgroup_size: 64
    .name:           _ZL13mm_ids_helperILi32EEvPKiPiS2_S2_iiiii
    .private_segment_fixed_size: 0
    .sgpr_count:     36
    .sgpr_spill_count: 0
    .symbol:         _ZL13mm_ids_helperILi32EEvPKiPiS2_S2_iiiii.kd
    .uniform_work_group_size: 1
    .uses_dynamic_stack: false
    .vgpr_count:     52
    .vgpr_spill_count: 0
    .wavefront_size: 64
  - .agpr_count:     0
    .args:
      - .actual_access:  read_only
        .address_space:  global
        .offset:         0
        .size:           8
        .value_kind:     global_buffer
      - .actual_access:  write_only
        .address_space:  global
        .offset:         8
        .size:           8
        .value_kind:     global_buffer
      - .actual_access:  write_only
        .address_space:  global
        .offset:         16
        .size:           8
        .value_kind:     global_buffer
      - .actual_access:  write_only
        .address_space:  global
        .offset:         24
        .size:           8
        .value_kind:     global_buffer
      - .offset:         32
        .size:           4
        .value_kind:     by_value
      - .offset:         36
        .size:           4
        .value_kind:     by_value
      - .offset:         40
        .size:           4
        .value_kind:     by_value
      - .offset:         44
        .size:           4
        .value_kind:     by_value
      - .offset:         48
        .size:           4
        .value_kind:     by_value
      - .offset:         56
        .size:           4
        .value_kind:     hidden_block_count_x
      - .offset:         60
        .size:           4
        .value_kind:     hidden_block_count_y
      - .offset:         64
        .size:           4
        .value_kind:     hidden_block_count_z
      - .offset:         68
        .size:           2
        .value_kind:     hidden_group_size_x
      - .offset:         70
        .size:           2
        .value_kind:     hidden_group_size_y
      - .offset:         72
        .size:           2
        .value_kind:     hidden_group_size_z
      - .offset:         74
        .size:           2
        .value_kind:     hidden_remainder_x
      - .offset:         76
        .size:           2
        .value_kind:     hidden_remainder_y
      - .offset:         78
        .size:           2
        .value_kind:     hidden_remainder_z
      - .offset:         96
        .size:           8
        .value_kind:     hidden_global_offset_x
      - .offset:         104
        .size:           8
        .value_kind:     hidden_global_offset_y
      - .offset:         112
        .size:           8
        .value_kind:     hidden_global_offset_z
      - .offset:         120
        .size:           2
        .value_kind:     hidden_grid_dims
      - .offset:         176
        .size:           4
        .value_kind:     hidden_dynamic_lds_size
    .group_segment_fixed_size: 0
    .kernarg_segment_align: 8
    .kernarg_segment_size: 312
    .language:       OpenCL C
    .language_version:
      - 2
      - 0
    .max_flat_workgroup_size: 64
    .name:           _ZL13mm_ids_helperILi0EEvPKiPiS2_S2_iiiii
    .private_segment_fixed_size: 0
    .sgpr_count:     38
    .sgpr_spill_count: 0
    .symbol:         _ZL13mm_ids_helperILi0EEvPKiPiS2_S2_iiiii.kd
    .uniform_work_group_size: 1
    .uses_dynamic_stack: false
    .vgpr_count:     53
    .vgpr_spill_count: 0
    .wavefront_size: 64
amdhsa.target:   amdgcn-amd-amdhsa--gfx90a
amdhsa.version:
  - 1
  - 2
...

	.end_amdgpu_metadata
